;; amdgpu-corpus repo=ROCm/rocFFT kind=compiled arch=gfx906 opt=O3
	.text
	.amdgcn_target "amdgcn-amd-amdhsa--gfx906"
	.amdhsa_code_object_version 6
	.protected	bluestein_single_back_len1512_dim1_sp_op_CI_CI ; -- Begin function bluestein_single_back_len1512_dim1_sp_op_CI_CI
	.globl	bluestein_single_back_len1512_dim1_sp_op_CI_CI
	.p2align	8
	.type	bluestein_single_back_len1512_dim1_sp_op_CI_CI,@function
bluestein_single_back_len1512_dim1_sp_op_CI_CI: ; @bluestein_single_back_len1512_dim1_sp_op_CI_CI
; %bb.0:
	s_load_dwordx4 s[16:19], s[4:5], 0x28
	s_mov_b64 s[22:23], s[2:3]
	v_mul_u32_u24_e32 v1, 0x411, v0
	s_mov_b64 s[20:21], s[0:1]
	v_add_u32_sdwa v4, s6, v1 dst_sel:DWORD dst_unused:UNUSED_PAD src0_sel:DWORD src1_sel:WORD_1
	v_mov_b32_e32 v5, 0
	s_add_u32 s20, s20, s7
	s_waitcnt lgkmcnt(0)
	v_cmp_gt_u64_e32 vcc, s[16:17], v[4:5]
	s_addc_u32 s21, s21, 0
	s_and_saveexec_b64 s[0:1], vcc
	s_cbranch_execz .LBB0_10
; %bb.1:
	s_load_dwordx4 s[0:3], s[4:5], 0x18
	s_load_dwordx4 s[12:15], s[4:5], 0x0
	v_mov_b32_e32 v2, 63
	v_mul_lo_u16_sdwa v1, v1, v2 dst_sel:DWORD dst_unused:UNUSED_PAD src0_sel:WORD_1 src1_sel:DWORD
	v_sub_u16_e32 v254, v0, v1
	s_waitcnt lgkmcnt(0)
	s_load_dwordx4 s[8:11], s[0:1], 0x0
	v_mov_b32_e32 v5, v4
	buffer_store_dword v5, off, s[20:23], 0 offset:56 ; 4-byte Folded Spill
	s_nop 0
	buffer_store_dword v6, off, s[20:23], 0 offset:60 ; 4-byte Folded Spill
	v_lshlrev_b32_e32 v253, 3, v254
	global_load_dwordx2 v[38:39], v253, s[12:13]
	s_waitcnt lgkmcnt(0)
	v_mad_u64_u32 v[0:1], s[0:1], s10, v4, 0
	v_mad_u64_u32 v[2:3], s[0:1], s8, v254, 0
	s_mul_i32 s7, s8, 0x17a0
	s_movk_i32 s6, 0x1000
	v_mad_u64_u32 v[4:5], s[0:1], s11, v4, v[1:2]
	s_mul_i32 s17, s8, 0xffffea58
	v_add_u32_e32 v96, 0x1800, v253
	v_mad_u64_u32 v[5:6], s[0:1], s9, v254, v[3:4]
	v_mov_b32_e32 v1, v4
	v_lshlrev_b64 v[0:1], 3, v[0:1]
	v_mov_b32_e32 v6, s19
	v_mov_b32_e32 v3, v5
	v_add_co_u32_e32 v4, vcc, s18, v0
	v_addc_co_u32_e32 v5, vcc, v6, v1, vcc
	v_lshlrev_b64 v[0:1], 3, v[2:3]
	v_mov_b32_e32 v2, s13
	v_add_co_u32_e32 v0, vcc, v4, v0
	v_addc_co_u32_e32 v1, vcc, v5, v1, vcc
	v_add_co_u32_e32 v22, vcc, s12, v253
	s_mul_i32 s0, s9, 0x17a0
	s_mul_hi_u32 s1, s8, 0x17a0
	v_addc_co_u32_e32 v23, vcc, 0, v2, vcc
	s_add_i32 s1, s1, s0
	v_mov_b32_e32 v3, s1
	v_add_co_u32_e32 v2, vcc, s7, v0
	v_addc_co_u32_e32 v3, vcc, v1, v3, vcc
	global_load_dwordx2 v[4:5], v[0:1], off
	global_load_dwordx2 v[6:7], v[2:3], off
	s_mul_i32 s0, s9, 0xffffea58
	s_mul_hi_u32 s9, s8, 0xffffea58
	v_add_co_u32_e32 v0, vcc, s6, v22
	s_sub_i32 s16, s9, s8
	v_addc_co_u32_e32 v1, vcc, 0, v23, vcc
	s_add_i32 s16, s16, s0
	v_mov_b32_e32 v8, s16
	v_add_co_u32_e32 v2, vcc, s17, v2
	v_addc_co_u32_e32 v3, vcc, v3, v8, vcc
	global_load_dwordx2 v[36:37], v[0:1], off offset:1952
	global_load_dwordx2 v[8:9], v[2:3], off
	global_load_dwordx2 v[34:35], v253, s[12:13] offset:504
	v_mov_b32_e32 v10, s1
	v_add_co_u32_e32 v2, vcc, s7, v2
	v_addc_co_u32_e32 v3, vcc, v3, v10, vcc
	global_load_dwordx2 v[10:11], v[2:3], off
	global_load_dwordx2 v[32:33], v[0:1], off offset:2456
	v_mov_b32_e32 v12, s16
	v_add_co_u32_e32 v2, vcc, s17, v2
	v_addc_co_u32_e32 v3, vcc, v3, v12, vcc
	global_load_dwordx2 v[12:13], v[2:3], off
	global_load_dwordx2 v[30:31], v253, s[12:13] offset:1008
	v_mov_b32_e32 v14, s1
	v_add_co_u32_e32 v2, vcc, s7, v2
	v_addc_co_u32_e32 v3, vcc, v3, v14, vcc
	global_load_dwordx2 v[14:15], v[2:3], off
	global_load_dwordx2 v[28:29], v[0:1], off offset:2960
	v_mov_b32_e32 v16, s16
	v_add_co_u32_e32 v2, vcc, s17, v2
	v_addc_co_u32_e32 v3, vcc, v3, v16, vcc
	global_load_dwordx2 v[16:17], v[2:3], off
	global_load_dwordx2 v[26:27], v253, s[12:13] offset:1512
	v_mov_b32_e32 v18, s1
	v_add_co_u32_e32 v2, vcc, s7, v2
	v_addc_co_u32_e32 v3, vcc, v3, v18, vcc
	global_load_dwordx2 v[24:25], v[0:1], off offset:3464
	global_load_dwordx2 v[18:19], v[2:3], off
	s_load_dwordx4 s[8:11], s[2:3], 0x0
	v_add_co_u32_e32 v65, vcc, 63, v254
	s_movk_i32 s0, 0x7e
	v_addc_co_u32_e64 v66, s[2:3], 0, 0, vcc
	v_add_co_u32_e32 v64, vcc, s0, v254
	s_movk_i32 s0, 0xbd
	v_add_co_u32_e32 v188, vcc, s0, v254
	v_add_co_u32_e32 v2, vcc, s17, v2
	s_movk_i32 s2, 0x2000
	v_add_u32_e32 v99, 0x400, v253
	v_add_u32_e32 v108, 0x2000, v253
	v_add_u32_e32 v255, 0x800, v253
	v_add_u32_e32 v76, 0xc00, v253
	v_add_u32_e32 v100, 0x2800, v253
	v_add_u32_e32 v97, 0x1000, v253
	v_add_u32_e32 v101, 0x1400, v253
	v_add_u32_e32 v98, 0x1c00, v253
	v_add_u32_e32 v92, 0x2400, v253
	v_lshlrev_b32_e32 v149, 4, v254
	s_movk_i32 s0, 0xfc
	v_add_u32_e32 v109, 0x2b5, v254
	v_add_u32_e32 v110, 0x237, v254
	;; [unrolled: 1-line block ×3, first 2 shown]
	v_and_b32_e32 v60, 3, v65
	v_and_b32_e32 v61, 3, v110
	v_and_b32_e32 v62, 3, v64
	v_and_b32_e32 v67, 3, v112
	v_and_b32_e32 v63, 3, v188
	s_waitcnt vmcnt(14)
	v_mul_f32_e32 v20, v5, v39
	v_mul_f32_e32 v21, v4, v39
	v_fmac_f32_e32 v20, v4, v38
	buffer_store_dword v38, off, s[20:23], 0 offset:112 ; 4-byte Folded Spill
	s_nop 0
	buffer_store_dword v39, off, s[20:23], 0 offset:116 ; 4-byte Folded Spill
	v_and_b32_e32 v68, 3, v109
	s_waitcnt vmcnt(14)
	v_mul_f32_e32 v4, v7, v37
	v_fmac_f32_e32 v4, v6, v36
	v_fma_f32 v21, v5, v38, -v21
	global_load_dwordx2 v[42:43], v[0:1], off offset:440
	global_load_dwordx2 v[40:41], v[0:1], off offset:944
	;; [unrolled: 1-line block ×3, first 2 shown]
	v_mul_f32_e32 v5, v6, v37
	buffer_store_dword v36, off, s[20:23], 0 offset:104 ; 4-byte Folded Spill
	s_nop 0
	buffer_store_dword v37, off, s[20:23], 0 offset:108 ; 4-byte Folded Spill
	s_waitcnt vmcnt(11)
	v_mul_f32_e32 v6, v15, v29
	v_fmac_f32_e32 v6, v14, v28
	v_fma_f32 v5, v7, v36, -v5
	ds_write_b64 v253, v[4:5] offset:6048
	v_mul_f32_e32 v4, v9, v35
	v_fmac_f32_e32 v4, v8, v34
	v_mul_f32_e32 v5, v8, v35
	buffer_store_dword v34, off, s[20:23], 0 offset:96 ; 4-byte Folded Spill
	s_nop 0
	buffer_store_dword v35, off, s[20:23], 0 offset:100 ; 4-byte Folded Spill
	global_load_dwordx2 v[215:216], v[0:1], off offset:3968
	v_mul_f32_e32 v0, v11, v33
	v_fmac_f32_e32 v0, v10, v32
	v_mul_f32_e32 v1, v10, v33
	v_mul_f32_e32 v7, v14, v29
	v_mov_b32_e32 v8, s16
	v_mov_b32_e32 v10, s1
	;; [unrolled: 1-line block ×4, first 2 shown]
	v_fma_f32 v5, v9, v34, -v5
	ds_write2_b64 v253, v[20:21], v[4:5] offset1:63
	v_mul_f32_e32 v4, v13, v31
	buffer_store_dword v32, off, s[20:23], 0 offset:80 ; 4-byte Folded Spill
	s_nop 0
	buffer_store_dword v33, off, s[20:23], 0 offset:84 ; 4-byte Folded Spill
	v_fmac_f32_e32 v4, v12, v30
	v_mul_f32_e32 v5, v12, v31
	buffer_store_dword v30, off, s[20:23], 0 offset:72 ; 4-byte Folded Spill
	s_nop 0
	buffer_store_dword v31, off, s[20:23], 0 offset:76 ; 4-byte Folded Spill
	buffer_store_dword v28, off, s[20:23], 0 offset:64 ; 4-byte Folded Spill
	s_nop 0
	buffer_store_dword v29, off, s[20:23], 0 offset:68 ; 4-byte Folded Spill
	v_mov_b32_e32 v20, s1
	v_mov_b32_e32 v34, s16
	v_fma_f32 v1, v11, v32, -v1
	v_mov_b32_e32 v32, s1
	v_fma_f32 v5, v13, v30, -v5
	v_fma_f32 v7, v15, v28, -v7
	ds_write2_b64 v96, v[0:1], v[6:7] offset0:51 offset1:114
	s_waitcnt vmcnt(18)
	v_mul_f32_e32 v0, v17, v27
	v_fmac_f32_e32 v0, v16, v26
	v_mul_f32_e32 v1, v16, v27
	buffer_store_dword v26, off, s[20:23], 0 offset:48 ; 4-byte Folded Spill
	s_nop 0
	buffer_store_dword v27, off, s[20:23], 0 offset:52 ; 4-byte Folded Spill
	v_mov_b32_e32 v6, s1
	v_mov_b32_e32 v16, s1
	;; [unrolled: 1-line block ×4, first 2 shown]
	v_fma_f32 v1, v17, v26, -v1
	ds_write2_b64 v253, v[4:5], v[0:1] offset0:126 offset1:189
	s_waitcnt vmcnt(18)
	v_mul_f32_e32 v0, v19, v25
	v_fmac_f32_e32 v0, v18, v24
	v_mul_f32_e32 v1, v18, v25
	buffer_store_dword v24, off, s[20:23], 0 offset:32 ; 4-byte Folded Spill
	s_nop 0
	buffer_store_dword v25, off, s[20:23], 0 offset:36 ; 4-byte Folded Spill
	v_mov_b32_e32 v4, s16
	v_addc_co_u32_e32 v3, vcc, v3, v4, vcc
	global_load_dwordx2 v[4:5], v[2:3], off
	v_add_co_u32_e32 v2, vcc, s7, v2
	v_addc_co_u32_e32 v3, vcc, v3, v6, vcc
	global_load_dwordx2 v[6:7], v[2:3], off
	v_add_co_u32_e32 v2, vcc, s17, v2
	v_addc_co_u32_e32 v3, vcc, v3, v8, vcc
	global_load_dwordx2 v[8:9], v[2:3], off
	global_load_dwordx2 v[221:222], v253, s[12:13] offset:2016
	global_load_dwordx2 v[219:220], v253, s[12:13] offset:2520
	v_add_co_u32_e32 v2, vcc, s7, v2
	v_addc_co_u32_e32 v3, vcc, v3, v10, vcc
	v_add_co_u32_e32 v12, vcc, s2, v22
	v_addc_co_u32_e32 v13, vcc, 0, v23, vcc
	global_load_dwordx2 v[10:11], v[2:3], off
	v_add_co_u32_e32 v2, vcc, s17, v2
	v_addc_co_u32_e32 v3, vcc, v3, v14, vcc
	global_load_dwordx2 v[14:15], v[2:3], off
	;; [unrolled: 3-line block ×3, first 2 shown]
	global_load_dwordx2 v[217:218], v[12:13], off offset:376
	global_load_dwordx2 v[211:212], v[12:13], off offset:880
	v_mov_b32_e32 v18, s16
	v_add_co_u32_e32 v2, vcc, s17, v2
	v_addc_co_u32_e32 v3, vcc, v3, v18, vcc
	v_mov_b32_e32 v22, s16
	v_mov_b32_e32 v26, s16
	s_load_dwordx2 s[2:3], s[4:5], 0x38
	v_fma_f32 v1, v19, v24, -v1
	global_load_dwordx2 v[18:19], v[2:3], off
	global_load_dwordx2 v[213:214], v253, s[12:13] offset:3024
	global_load_dwordx2 v[56:57], v253, s[12:13] offset:3528
	v_add_co_u32_e32 v2, vcc, s7, v2
	v_addc_co_u32_e32 v3, vcc, v3, v20, vcc
	global_load_dwordx2 v[20:21], v[2:3], off
	v_add_co_u32_e32 v2, vcc, s17, v2
	v_addc_co_u32_e32 v3, vcc, v3, v22, vcc
	global_load_dwordx2 v[22:23], v[2:3], off
	global_load_dwordx2 v[52:53], v253, s[12:13] offset:4032
	v_mov_b32_e32 v24, s1
	v_add_co_u32_e32 v2, vcc, s7, v2
	v_addc_co_u32_e32 v3, vcc, v3, v24, vcc
	global_load_dwordx2 v[24:25], v[2:3], off
	global_load_dwordx2 v[54:55], v[12:13], off offset:1384
	global_load_dwordx2 v[50:51], v[12:13], off offset:1888
	v_add_co_u32_e32 v2, vcc, s17, v2
	v_addc_co_u32_e32 v3, vcc, v3, v26, vcc
	global_load_dwordx2 v[26:27], v[2:3], off
	v_add_co_u32_e32 v2, vcc, s7, v2
	v_addc_co_u32_e32 v3, vcc, v3, v28, vcc
	global_load_dwordx2 v[28:29], v[2:3], off
	global_load_dwordx2 v[48:49], v[12:13], off offset:2392
	v_add_co_u32_e32 v2, vcc, s17, v2
	v_addc_co_u32_e32 v3, vcc, v3, v30, vcc
	global_load_dwordx2 v[30:31], v[2:3], off
	v_add_co_u32_e32 v2, vcc, s7, v2
	v_addc_co_u32_e32 v3, vcc, v3, v32, vcc
	global_load_dwordx2 v[32:33], v[2:3], off
	;; [unrolled: 7-line block ×3, first 2 shown]
	global_load_dwordx2 v[44:45], v[12:13], off offset:3400
	s_waitcnt vmcnt(24)
	v_mul_f32_e32 v2, v5, v222
	v_mul_f32_e32 v3, v4, v222
	v_fmac_f32_e32 v2, v4, v221
	v_fma_f32 v3, v5, v221, -v3
	v_mul_f32_e32 v4, v7, v216
	v_mul_f32_e32 v5, v6, v216
	v_fmac_f32_e32 v4, v6, v215
	v_fma_f32 v5, v7, v215, -v5
	ds_write2_b64 v96, v[0:1], v[4:5] offset0:177 offset1:240
	s_waitcnt vmcnt(23)
	v_mul_f32_e32 v0, v9, v220
	v_mul_f32_e32 v1, v8, v220
	v_fmac_f32_e32 v0, v8, v219
	v_fma_f32 v1, v9, v219, -v1
	ds_write2_b64 v99, v[2:3], v[0:1] offset0:124 offset1:187
	s_waitcnt vmcnt(19)
	v_mul_f32_e32 v0, v11, v218
	v_mul_f32_e32 v1, v10, v218
	s_waitcnt vmcnt(18)
	v_mul_f32_e32 v4, v17, v212
	v_mul_f32_e32 v5, v16, v212
	v_fmac_f32_e32 v0, v10, v217
	v_fma_f32 v1, v11, v217, -v1
	v_fmac_f32_e32 v4, v16, v211
	v_fma_f32 v5, v17, v211, -v5
	ds_write2_b64 v108, v[0:1], v[4:5] offset0:47 offset1:110
	v_add_co_u32_e32 v81, vcc, s0, v254
	s_movk_i32 s1, 0x13b
	v_add_co_u32_e32 v80, vcc, s1, v254
	s_movk_i32 s1, 0x17a
	;; [unrolled: 2-line block ×3, first 2 shown]
	s_waitcnt vmcnt(16)
	v_mul_f32_e32 v2, v15, v214
	s_waitcnt vmcnt(15)
	v_mul_f32_e32 v0, v19, v57
	v_fmac_f32_e32 v0, v18, v56
	v_mul_f32_e32 v1, v18, v57
	buffer_store_dword v56, off, s[20:23], 0 offset:144 ; 4-byte Folded Spill
	s_nop 0
	buffer_store_dword v57, off, s[20:23], 0 offset:148 ; 4-byte Folded Spill
	v_mul_f32_e32 v3, v14, v214
	v_fmac_f32_e32 v2, v14, v213
	v_fma_f32 v3, v15, v213, -v3
	v_add_co_u32_e32 v93, vcc, s1, v254
	s_movk_i32 s1, 0x7c
	v_lshlrev_b32_e32 v57, 1, v188
	v_lshlrev_b32_e32 v58, 1, v80
	;; [unrolled: 1-line block ×3, first 2 shown]
	v_and_b32_e32 v69, 3, v80
	v_and_b32_e32 v70, 3, v82
	;; [unrolled: 1-line block ×3, first 2 shown]
	s_waitcnt vmcnt(11)
	v_mul_f32_e32 v4, v25, v51
	v_fmac_f32_e32 v4, v24, v50
	v_mul_f32_e32 v5, v24, v51
	v_fma_f32 v1, v19, v56, -v1
	ds_write2_b64 v255, v[2:3], v[0:1] offset0:122 offset1:185
	v_mul_f32_e32 v0, v21, v55
	v_mul_f32_e32 v2, v23, v53
	v_fmac_f32_e32 v0, v20, v54
	v_mul_f32_e32 v1, v20, v55
	buffer_store_dword v54, off, s[20:23], 0 offset:136 ; 4-byte Folded Spill
	s_nop 0
	buffer_store_dword v55, off, s[20:23], 0 offset:140 ; 4-byte Folded Spill
	v_fmac_f32_e32 v2, v22, v52
	v_mul_f32_e32 v3, v22, v53
	buffer_store_dword v52, off, s[20:23], 0 offset:128 ; 4-byte Folded Spill
	s_nop 0
	buffer_store_dword v53, off, s[20:23], 0 offset:132 ; 4-byte Folded Spill
	buffer_store_dword v50, off, s[20:23], 0 offset:120 ; 4-byte Folded Spill
	s_nop 0
	buffer_store_dword v51, off, s[20:23], 0 offset:124 ; 4-byte Folded Spill
	v_fma_f32 v1, v21, v54, -v1
	v_fma_f32 v3, v23, v52, -v3
	v_fma_f32 v5, v25, v50, -v5
	ds_write2_b64 v108, v[0:1], v[4:5] offset0:173 offset1:236
	s_waitcnt vmcnt(16)
	v_mul_f32_e32 v0, v27, v43
	v_fmac_f32_e32 v0, v26, v42
	v_mul_f32_e32 v1, v26, v43
	buffer_store_dword v42, off, s[20:23], 0 offset:16 ; 4-byte Folded Spill
	s_nop 0
	buffer_store_dword v43, off, s[20:23], 0 offset:20 ; 4-byte Folded Spill
	s_waitcnt vmcnt(13)
	v_mul_f32_e32 v4, v33, v47
	v_fmac_f32_e32 v4, v32, v46
	v_mul_f32_e32 v5, v32, v47
	v_fma_f32 v1, v27, v42, -v1
	ds_write2_b64 v76, v[2:3], v[0:1] offset0:120 offset1:183
	v_mul_f32_e32 v0, v29, v49
	v_mul_f32_e32 v2, v31, v41
	v_fmac_f32_e32 v0, v28, v48
	v_mul_f32_e32 v1, v28, v49
	buffer_store_dword v48, off, s[20:23], 0 offset:88 ; 4-byte Folded Spill
	s_nop 0
	buffer_store_dword v49, off, s[20:23], 0 offset:92 ; 4-byte Folded Spill
	v_fmac_f32_e32 v2, v30, v40
	v_mul_f32_e32 v3, v30, v41
	buffer_store_dword v40, off, s[20:23], 0 offset:8 ; 4-byte Folded Spill
	s_nop 0
	buffer_store_dword v41, off, s[20:23], 0 offset:12 ; 4-byte Folded Spill
	buffer_store_dword v46, off, s[20:23], 0 offset:40 ; 4-byte Folded Spill
	s_nop 0
	buffer_store_dword v47, off, s[20:23], 0 offset:44 ; 4-byte Folded Spill
	v_fma_f32 v1, v29, v48, -v1
	v_fma_f32 v3, v31, v40, -v3
	;; [unrolled: 1-line block ×3, first 2 shown]
	ds_write2_b64 v100, v[0:1], v[4:5] offset0:43 offset1:106
	s_waitcnt vmcnt(18)
	v_mul_f32_e32 v0, v35, v39
	v_fmac_f32_e32 v0, v34, v38
	v_mul_f32_e32 v1, v34, v39
	buffer_store_dword v38, off, s[20:23], 0 ; 4-byte Folded Spill
	s_nop 0
	buffer_store_dword v39, off, s[20:23], 0 offset:4 ; 4-byte Folded Spill
	v_fma_f32 v1, v35, v38, -v1
	ds_write2_b64 v97, v[2:3], v[0:1] offset0:118 offset1:181
	s_waitcnt vmcnt(18)
	v_mul_f32_e32 v0, v37, v45
	v_fmac_f32_e32 v0, v36, v44
	v_mul_f32_e32 v1, v36, v45
	buffer_store_dword v44, off, s[20:23], 0 offset:24 ; 4-byte Folded Spill
	s_nop 0
	buffer_store_dword v45, off, s[20:23], 0 offset:28 ; 4-byte Folded Spill
	v_fma_f32 v1, v37, v44, -v1
	ds_write_b64 v253, v[0:1] offset:11592
	s_waitcnt lgkmcnt(0)
	; wave barrier
	s_waitcnt lgkmcnt(0)
	ds_read2_b64 v[0:3], v253 offset1:63
	ds_read2_b64 v[4:7], v101 offset0:116 offset1:179
	ds_read2_b64 v[8:11], v253 offset0:126 offset1:189
	;; [unrolled: 1-line block ×11, first 2 shown]
	s_waitcnt lgkmcnt(0)
	v_sub_f32_e32 v50, v0, v4
	v_sub_f32_e32 v51, v1, v5
	;; [unrolled: 1-line block ×4, first 2 shown]
	v_fma_f32 v48, v0, 2.0, -v50
	v_fma_f32 v49, v1, 2.0, -v51
	;; [unrolled: 1-line block ×4, first 2 shown]
	v_sub_f32_e32 v54, v8, v12
	v_sub_f32_e32 v55, v9, v13
	v_lshlrev_b32_e32 v1, 4, v65
	v_fma_f32 v52, v8, 2.0, -v54
	v_fma_f32 v53, v9, 2.0, -v55
	v_sub_f32_e32 v8, v10, v14
	v_sub_f32_e32 v9, v11, v15
	; wave barrier
	ds_write_b128 v149, v[48:51]
	buffer_store_dword v1, off, s[20:23], 0 offset:152 ; 4-byte Folded Spill
	ds_write_b128 v1, v[2:5]
	v_lshlrev_b32_e32 v1, 4, v64
	v_fma_f32 v6, v10, 2.0, -v8
	v_fma_f32 v7, v11, 2.0, -v9
	v_sub_f32_e32 v12, v16, v20
	v_sub_f32_e32 v13, v17, v21
	buffer_store_dword v1, off, s[20:23], 0 offset:156 ; 4-byte Folded Spill
	ds_write_b128 v1, v[52:55]
	v_lshlrev_b32_e32 v1, 4, v188
	v_fma_f32 v10, v16, 2.0, -v12
	v_fma_f32 v11, v17, 2.0, -v13
	v_sub_f32_e32 v16, v18, v22
	v_sub_f32_e32 v17, v19, v23
	;; [unrolled: 7-line block ×5, first 2 shown]
	v_lshlrev_b32_e32 v0, 1, v254
	buffer_store_dword v1, off, s[20:23], 0 offset:172 ; 4-byte Folded Spill
	ds_write_b128 v1, v[18:21]
	v_lshlrev_b32_e32 v1, 4, v93
	v_fma_f32 v26, v32, 2.0, -v28
	v_fma_f32 v27, v33, 2.0, -v29
	v_sub_f32_e32 v32, v34, v38
	v_sub_f32_e32 v33, v35, v39
	;; [unrolled: 1-line block ×6, first 2 shown]
	buffer_store_dword v1, off, s[20:23], 0 offset:176 ; 4-byte Folded Spill
	ds_write_b128 v1, v[22:25]
	v_lshlrev_b32_e32 v1, 3, v0
	v_and_b32_e32 v49, 1, v254
	v_fma_f32 v30, v34, 2.0, -v32
	v_fma_f32 v31, v35, 2.0, -v33
	;; [unrolled: 1-line block ×6, first 2 shown]
	ds_write_b128 v1, v[26:29] offset:8064
	ds_write_b128 v149, v[30:33] offset:9072
	;; [unrolled: 1-line block ×4, first 2 shown]
	v_lshlrev_b32_e32 v1, 3, v49
	s_waitcnt lgkmcnt(0)
	; wave barrier
	s_waitcnt lgkmcnt(0)
	global_load_dwordx2 v[223:224], v1, s[14:15]
	v_and_b32_e32 v50, 1, v65
	v_and_b32_e32 v51, 1, v109
	v_lshlrev_b32_e32 v1, 3, v50
	v_lshlrev_b32_e32 v2, 3, v51
	v_and_b32_e32 v52, 1, v188
	global_load_dword v29, v2, s[14:15] offset:4
	global_load_dwordx2 v[225:226], v2, s[14:15]
	global_load_dword v21, v1, s[14:15]
	v_lshlrev_b32_e32 v1, 3, v52
	global_load_dwordx2 v[233:234], v1, s[14:15]
	v_and_b32_e32 v53, 1, v80
	v_lshlrev_b32_e32 v1, 3, v53
	global_load_dwordx2 v[231:232], v1, s[14:15]
	v_and_b32_e32 v54, 1, v93
	;; [unrolled: 3-line block ×3, first 2 shown]
	v_lshlrev_b32_e32 v1, 3, v55
	global_load_dwordx2 v[227:228], v1, s[14:15]
	ds_read2_b64 v[1:4], v101 offset0:116 offset1:179
	ds_read2_b64 v[5:8], v96 offset0:114 offset1:177
	ds_read2_b64 v[9:12], v98 offset0:112 offset1:175
	ds_read2_b64 v[13:16], v108 offset0:110 offset1:173
	v_and_or_b32 v56, v0, s1, v49
	v_lshlrev_b32_e32 v56, 3, v56
	s_movk_i32 s1, 0x2fc
	v_add_u32_e32 v111, 0x3f0, v0
	s_waitcnt vmcnt(7) lgkmcnt(3)
	v_mul_f32_e32 v17, v2, v224
	v_fma_f32 v17, v1, v223, -v17
	v_mul_f32_e32 v18, v1, v224
	v_fmac_f32_e32 v18, v2, v223
	s_waitcnt lgkmcnt(2)
	v_mul_f32_e32 v22, v5, v224
	s_waitcnt vmcnt(5)
	v_mul_f32_e32 v1, v4, v226
	s_waitcnt vmcnt(4)
	v_fma_f32 v19, v3, v21, -v1
	v_mul_f32_e32 v20, v3, v226
	v_mul_f32_e32 v1, v6, v224
	buffer_store_dword v21, off, s[20:23], 0 offset:184 ; 4-byte Folded Spill
	v_fmac_f32_e32 v20, v4, v21
	v_fma_f32 v21, v5, v223, -v1
	s_waitcnt vmcnt(4)
	v_mul_f32_e32 v1, v8, v234
	v_fma_f32 v23, v7, v233, -v1
	s_waitcnt lgkmcnt(1)
	v_mul_f32_e32 v1, v10, v224
	v_fma_f32 v25, v9, v223, -v1
	s_waitcnt vmcnt(3)
	v_mul_f32_e32 v1, v12, v232
	v_fma_f32 v27, v11, v231, -v1
	s_waitcnt lgkmcnt(0)
	v_mul_f32_e32 v1, v14, v224
	v_fma_f32 v33, v13, v223, -v1
	ds_read2_b64 v[1:4], v92 offset0:108 offset1:171
	s_waitcnt vmcnt(2)
	v_mul_f32_e32 v5, v16, v230
	v_mul_f32_e32 v24, v7, v234
	v_fma_f32 v35, v15, v229, -v5
	v_fmac_f32_e32 v22, v6, v223
	s_waitcnt lgkmcnt(0)
	v_mul_f32_e32 v5, v2, v224
	v_fmac_f32_e32 v24, v8, v233
	v_fma_f32 v41, v1, v223, -v5
	ds_read2_b64 v[5:8], v100 offset0:106 offset1:169
	v_mul_f32_e32 v42, v1, v224
	s_waitcnt vmcnt(1)
	v_mul_f32_e32 v1, v4, v228
	v_fma_f32 v43, v3, v227, -v1
	v_mul_f32_e32 v44, v3, v228
	s_waitcnt lgkmcnt(0)
	v_mul_f32_e32 v1, v6, v224
	v_fma_f32 v45, v5, v223, -v1
	v_mul_f32_e32 v46, v5, v224
	v_mul_f32_e32 v5, v8, v29
	;; [unrolled: 1-line block ×3, first 2 shown]
	v_fmac_f32_e32 v42, v2, v223
	v_fmac_f32_e32 v44, v4, v227
	;; [unrolled: 1-line block ×3, first 2 shown]
	ds_read2_b64 v[1:4], v253 offset1:63
	v_fma_f32 v47, v7, v225, -v5
	v_fmac_f32_e32 v48, v8, v225
	ds_read2_b64 v[5:8], v253 offset0:126 offset1:189
	v_mul_f32_e32 v26, v9, v224
	v_mul_f32_e32 v28, v11, v232
	v_fmac_f32_e32 v26, v10, v223
	v_fmac_f32_e32 v28, v12, v231
	v_mul_f32_e32 v34, v13, v224
	v_mul_f32_e32 v36, v15, v230
	s_waitcnt lgkmcnt(1)
	v_sub_f32_e32 v9, v1, v17
	v_sub_f32_e32 v10, v2, v18
	;; [unrolled: 1-line block ×4, first 2 shown]
	s_waitcnt lgkmcnt(0)
	v_sub_f32_e32 v17, v5, v21
	v_sub_f32_e32 v18, v6, v22
	v_sub_f32_e32 v19, v7, v23
	v_sub_f32_e32 v20, v8, v24
	v_fmac_f32_e32 v34, v14, v223
	v_fmac_f32_e32 v36, v16, v229
	v_fma_f32 v13, v1, 2.0, -v9
	v_fma_f32 v14, v2, 2.0, -v10
	;; [unrolled: 1-line block ×4, first 2 shown]
	ds_read2_b64 v[1:4], v99 offset0:124 offset1:187
	v_fma_f32 v21, v5, 2.0, -v17
	v_fma_f32 v22, v6, 2.0, -v18
	;; [unrolled: 1-line block ×4, first 2 shown]
	ds_read2_b64 v[5:8], v255 offset0:122 offset1:185
	s_waitcnt lgkmcnt(1)
	v_sub_f32_e32 v25, v1, v25
	v_sub_f32_e32 v26, v2, v26
	;; [unrolled: 1-line block ×4, first 2 shown]
	s_waitcnt lgkmcnt(0)
	v_sub_f32_e32 v33, v5, v33
	v_sub_f32_e32 v34, v6, v34
	v_sub_f32_e32 v35, v7, v35
	v_sub_f32_e32 v36, v8, v36
	buffer_store_dword v29, off, s[20:23], 0 offset:180 ; 4-byte Folded Spill
	v_fma_f32 v29, v1, 2.0, -v25
	v_fma_f32 v30, v2, 2.0, -v26
	;; [unrolled: 1-line block ×4, first 2 shown]
	ds_read2_b64 v[1:4], v76 offset0:120 offset1:183
	v_fma_f32 v37, v5, 2.0, -v33
	v_fma_f32 v38, v6, 2.0, -v34
	;; [unrolled: 1-line block ×4, first 2 shown]
	ds_read2_b64 v[5:8], v97 offset0:118 offset1:181
	s_waitcnt lgkmcnt(0)
	; wave barrier
	s_waitcnt lgkmcnt(0)
	buffer_store_dword v56, off, s[20:23], 0 offset:188 ; 4-byte Folded Spill
	ds_write2_b64 v56, v[13:14], v[9:10] offset1:2
	v_lshlrev_b32_e32 v56, 1, v65
	v_and_or_b32 v9, v56, s0, v50
	v_lshlrev_b32_e32 v9, 3, v9
	s_movk_i32 s0, 0x1fc
	v_lshlrev_b32_e32 v50, 1, v64
	buffer_store_dword v9, off, s[20:23], 0 offset:192 ; 4-byte Folded Spill
	ds_write2_b64 v9, v[15:16], v[11:12] offset1:2
	v_and_or_b32 v9, v50, s0, v49
	v_lshlrev_b32_e32 v9, 3, v9
	buffer_store_dword v9, off, s[20:23], 0 offset:196 ; 4-byte Folded Spill
	ds_write2_b64 v9, v[21:22], v[17:18] offset1:2
	v_and_or_b32 v9, v57, s0, v52
	v_lshlrev_b32_e32 v9, 3, v9
	s_movk_i32 s0, 0x3fc
	v_lshlrev_b32_e32 v52, 1, v81
	buffer_store_dword v9, off, s[20:23], 0 offset:200 ; 4-byte Folded Spill
	ds_write2_b64 v9, v[23:24], v[19:20] offset1:2
	v_and_or_b32 v9, v52, s0, v49
	v_lshlrev_b32_e32 v9, 3, v9
	buffer_store_dword v9, off, s[20:23], 0 offset:204 ; 4-byte Folded Spill
	ds_write2_b64 v9, v[29:30], v[25:26] offset1:2
	v_and_or_b32 v9, v58, s1, v53
	v_lshlrev_b32_e32 v9, 3, v9
	v_lshlrev_b32_e32 v53, 1, v82
	buffer_store_dword v9, off, s[20:23], 0 offset:208 ; 4-byte Folded Spill
	ds_write2_b64 v9, v[31:32], v[27:28] offset1:2
	v_and_or_b32 v9, v53, s0, v49
	v_lshlrev_b32_e32 v9, 3, v9
	buffer_store_dword v9, off, s[20:23], 0 offset:212 ; 4-byte Folded Spill
	ds_write2_b64 v9, v[37:38], v[33:34] offset1:2
	v_and_or_b32 v9, v59, s0, v54
	v_lshlrev_b32_e32 v9, 3, v9
	s_movk_i32 s0, 0x7fc
	v_sub_f32_e32 v41, v1, v41
	v_sub_f32_e32 v42, v2, v42
	buffer_store_dword v9, off, s[20:23], 0 offset:216 ; 4-byte Folded Spill
	ds_write2_b64 v9, v[39:40], v[35:36] offset1:2
	v_and_or_b32 v9, v111, s0, v49
	v_fma_f32 v1, v1, 2.0, -v41
	v_fma_f32 v2, v2, 2.0, -v42
	v_lshlrev_b32_e32 v9, 3, v9
	s_movk_i32 s0, 0x4fc
	v_lshlrev_b32_e32 v54, 1, v110
	v_sub_f32_e32 v43, v3, v43
	v_sub_f32_e32 v44, v4, v44
	ds_write2_b64 v9, v[1:2], v[41:42] offset1:2
	v_and_or_b32 v1, v54, s0, v55
	v_fma_f32 v3, v3, 2.0, -v43
	v_fma_f32 v4, v4, 2.0, -v44
	v_lshlrev_b32_e32 v1, 3, v1
	s_movk_i32 s0, 0x5fc
	v_lshlrev_b32_e32 v55, 1, v112
	v_sub_f32_e32 v45, v5, v45
	v_sub_f32_e32 v46, v6, v46
	buffer_store_dword v1, off, s[20:23], 0 offset:224 ; 4-byte Folded Spill
	ds_write2_b64 v1, v[3:4], v[43:44] offset1:2
	v_and_or_b32 v1, v55, s0, v49
	v_fma_f32 v5, v5, 2.0, -v45
	v_fma_f32 v6, v6, 2.0, -v46
	v_lshlrev_b32_e32 v1, 3, v1
	v_lshlrev_b32_e32 v49, 1, v109
	v_sub_f32_e32 v47, v7, v47
	v_sub_f32_e32 v48, v8, v48
	buffer_store_dword v1, off, s[20:23], 0 offset:228 ; 4-byte Folded Spill
	ds_write2_b64 v1, v[5:6], v[45:46] offset1:2
	v_and_or_b32 v1, v49, s0, v51
	v_fma_f32 v7, v7, 2.0, -v47
	v_fma_f32 v8, v8, 2.0, -v48
	v_lshlrev_b32_e32 v1, 3, v1
	v_and_b32_e32 v51, 3, v254
	buffer_store_dword v1, off, s[20:23], 0 offset:232 ; 4-byte Folded Spill
	ds_write2_b64 v1, v[7:8], v[47:48] offset1:2
	v_lshlrev_b32_e32 v1, 3, v51
	buffer_store_dword v9, off, s[20:23], 0 offset:220 ; 4-byte Folded Spill
	s_waitcnt lgkmcnt(0)
	; wave barrier
	s_waitcnt lgkmcnt(0)
	v_lshlrev_b32_e32 v2, 3, v60
	global_load_dwordx2 v[235:236], v1, s[14:15] offset:16
	global_load_dword v13, v2, s[14:15] offset:16
	v_lshlrev_b32_e32 v1, 3, v61
	global_load_dwordx2 v[237:238], v1, s[14:15] offset:16
	v_lshlrev_b32_e32 v2, 3, v62
	global_load_dword v14, v2, s[14:15] offset:16
	v_lshlrev_b32_e32 v3, 3, v67
	global_load_dwordx2 v[239:240], v3, s[14:15] offset:16
	v_lshlrev_b32_e32 v5, 3, v69
	v_lshlrev_b32_e32 v2, 3, v63
	;; [unrolled: 1-line block ×3, first 2 shown]
	global_load_dwordx2 v[243:244], v5, s[14:15] offset:16
	global_load_dwordx2 v[241:242], v4, s[14:15] offset:16
	global_load_dword v22, v2, s[14:15] offset:16
	v_lshlrev_b32_e32 v2, 3, v70
	global_load_dwordx2 v[245:246], v2, s[14:15] offset:16
	v_lshlrev_b32_e32 v2, 3, v71
	global_load_dwordx2 v[247:248], v2, s[14:15] offset:16
	global_load_dword v21, v1, s[14:15] offset:20
	global_load_dword v16, v3, s[14:15] offset:20
	;; [unrolled: 1-line block ×3, first 2 shown]
	ds_read2_b64 v[1:4], v101 offset0:116 offset1:179
	s_movk_i32 s0, 0x78
	v_and_or_b32 v0, v0, s0, v51
	v_lshlrev_b32_e32 v0, 3, v0
	s_movk_i32 s0, 0xf8
	s_movk_i32 s1, 0x2f8
	s_waitcnt vmcnt(12) lgkmcnt(0)
	v_mul_f32_e32 v5, v2, v236
	v_fma_f32 v9, v1, v235, -v5
	ds_read2_b64 v[5:8], v96 offset0:114 offset1:177
	v_mul_f32_e32 v10, v1, v236
	s_waitcnt vmcnt(10)
	v_mul_f32_e32 v1, v4, v238
	v_fma_f32 v11, v3, v13, -v1
	v_mul_f32_e32 v12, v3, v238
	s_waitcnt vmcnt(8) lgkmcnt(0)
	v_mul_f32_e32 v1, v6, v240
	v_fmac_f32_e32 v10, v2, v235
	v_fmac_f32_e32 v12, v4, v13
	v_fma_f32 v17, v5, v14, -v1
	ds_read2_b64 v[1:4], v98 offset0:112 offset1:175
	v_mul_f32_e32 v18, v5, v240
	s_waitcnt vmcnt(6)
	v_mul_f32_e32 v5, v8, v242
	s_waitcnt vmcnt(5)
	v_fma_f32 v19, v7, v22, -v5
	v_mul_f32_e32 v20, v7, v242
	s_waitcnt lgkmcnt(0)
	v_mul_f32_e32 v5, v2, v236
	v_fmac_f32_e32 v18, v6, v14
	v_fmac_f32_e32 v20, v8, v22
	v_fma_f32 v25, v1, v235, -v5
	ds_read2_b64 v[5:8], v108 offset0:110 offset1:173
	v_mul_f32_e32 v26, v1, v236
	v_mul_f32_e32 v1, v4, v244
	v_fma_f32 v27, v3, v243, -v1
	v_mul_f32_e32 v28, v3, v244
	s_waitcnt vmcnt(4) lgkmcnt(0)
	v_mul_f32_e32 v1, v6, v246
	v_fmac_f32_e32 v26, v2, v235
	v_fmac_f32_e32 v28, v4, v243
	v_fma_f32 v33, v5, v245, -v1
	ds_read2_b64 v[1:4], v92 offset0:108 offset1:171
	v_mul_f32_e32 v34, v5, v246
	s_waitcnt vmcnt(3)
	v_mul_f32_e32 v5, v8, v248
	v_fma_f32 v35, v7, v247, -v5
	v_mul_f32_e32 v36, v7, v248
	s_waitcnt lgkmcnt(0)
	v_mul_f32_e32 v5, v2, v236
	v_fmac_f32_e32 v34, v6, v245
	v_fmac_f32_e32 v36, v8, v247
	v_fma_f32 v41, v1, v235, -v5
	ds_read2_b64 v[5:8], v100 offset0:106 offset1:169
	v_mul_f32_e32 v42, v1, v236
	s_waitcnt vmcnt(2)
	v_mul_f32_e32 v1, v4, v21
	v_fma_f32 v43, v3, v237, -v1
	v_mul_f32_e32 v44, v3, v21
	s_waitcnt vmcnt(1) lgkmcnt(0)
	v_mul_f32_e32 v1, v6, v16
	v_fma_f32 v45, v5, v239, -v1
	v_mul_f32_e32 v46, v5, v16
	s_waitcnt vmcnt(0)
	v_mul_f32_e32 v5, v8, v15
	v_mul_f32_e32 v48, v7, v15
	v_fmac_f32_e32 v42, v2, v235
	v_fmac_f32_e32 v44, v4, v237
	;; [unrolled: 1-line block ×3, first 2 shown]
	ds_read2_b64 v[1:4], v253 offset1:63
	v_fma_f32 v47, v7, v241, -v5
	v_fmac_f32_e32 v48, v8, v241
	ds_read2_b64 v[5:8], v253 offset0:126 offset1:189
	buffer_store_dword v13, off, s[20:23], 0 offset:236 ; 4-byte Folded Spill
	s_waitcnt lgkmcnt(1)
	v_sub_f32_e32 v9, v1, v9
	v_sub_f32_e32 v10, v2, v10
	;; [unrolled: 1-line block ×4, first 2 shown]
	s_waitcnt lgkmcnt(0)
	v_sub_f32_e32 v17, v5, v17
	v_sub_f32_e32 v18, v6, v18
	;; [unrolled: 1-line block ×4, first 2 shown]
	buffer_store_dword v14, off, s[20:23], 0 offset:240 ; 4-byte Folded Spill
	buffer_store_dword v22, off, s[20:23], 0 offset:256 ; 4-byte Folded Spill
	;; [unrolled: 1-line block ×5, first 2 shown]
	v_fma_f32 v13, v1, 2.0, -v9
	v_fma_f32 v14, v2, 2.0, -v10
	;; [unrolled: 1-line block ×4, first 2 shown]
	ds_read2_b64 v[1:4], v99 offset0:124 offset1:187
	v_fma_f32 v21, v5, 2.0, -v17
	v_fma_f32 v22, v6, 2.0, -v18
	;; [unrolled: 1-line block ×4, first 2 shown]
	ds_read2_b64 v[5:8], v255 offset0:122 offset1:185
	s_waitcnt lgkmcnt(1)
	v_sub_f32_e32 v25, v1, v25
	v_sub_f32_e32 v26, v2, v26
	;; [unrolled: 1-line block ×4, first 2 shown]
	s_waitcnt lgkmcnt(0)
	v_sub_f32_e32 v33, v5, v33
	v_sub_f32_e32 v34, v6, v34
	;; [unrolled: 1-line block ×4, first 2 shown]
	v_fma_f32 v29, v1, 2.0, -v25
	v_fma_f32 v30, v2, 2.0, -v26
	;; [unrolled: 1-line block ×4, first 2 shown]
	ds_read2_b64 v[1:4], v76 offset0:120 offset1:183
	v_fma_f32 v37, v5, 2.0, -v33
	v_fma_f32 v38, v6, 2.0, -v34
	;; [unrolled: 1-line block ×4, first 2 shown]
	ds_read2_b64 v[5:8], v97 offset0:118 offset1:181
	s_waitcnt lgkmcnt(0)
	; wave barrier
	s_waitcnt lgkmcnt(0)
	buffer_store_dword v0, off, s[20:23], 0 offset:260 ; 4-byte Folded Spill
	ds_write2_b64 v0, v[13:14], v[9:10] offset1:4
	v_and_or_b32 v0, v56, s0, v60
	v_lshlrev_b32_e32 v0, 3, v0
	s_movk_i32 s0, 0x1f8
	buffer_store_dword v0, off, s[20:23], 0 offset:264 ; 4-byte Folded Spill
	ds_write2_b64 v0, v[15:16], v[11:12] offset1:4
	v_and_or_b32 v0, v50, s0, v62
	v_lshlrev_b32_e32 v0, 3, v0
	buffer_store_dword v0, off, s[20:23], 0 offset:268 ; 4-byte Folded Spill
	ds_write2_b64 v0, v[21:22], v[17:18] offset1:4
	v_and_or_b32 v0, v57, s0, v63
	v_lshlrev_b32_e32 v0, 3, v0
	s_movk_i32 s0, 0x3f8
	buffer_store_dword v0, off, s[20:23], 0 offset:272 ; 4-byte Folded Spill
	ds_write2_b64 v0, v[23:24], v[19:20] offset1:4
	v_and_or_b32 v0, v52, s0, v51
	v_lshlrev_b32_e32 v0, 3, v0
	buffer_store_dword v0, off, s[20:23], 0 offset:276 ; 4-byte Folded Spill
	ds_write2_b64 v0, v[29:30], v[25:26] offset1:4
	v_and_or_b32 v0, v58, s1, v69
	v_lshlrev_b32_e32 v0, 3, v0
	;; [unrolled: 4-line block ×4, first 2 shown]
	s_movk_i32 s0, 0x7f8
	v_sub_f32_e32 v41, v1, v41
	v_sub_f32_e32 v42, v2, v42
	buffer_store_dword v0, off, s[20:23], 0 offset:288 ; 4-byte Folded Spill
	ds_write2_b64 v0, v[39:40], v[35:36] offset1:4
	v_and_or_b32 v0, v111, s0, v51
	v_fma_f32 v1, v1, 2.0, -v41
	v_fma_f32 v2, v2, 2.0, -v42
	v_lshlrev_b32_e32 v0, 3, v0
	s_movk_i32 s0, 0x4f8
	v_sub_f32_e32 v43, v3, v43
	v_sub_f32_e32 v44, v4, v44
	buffer_store_dword v0, off, s[20:23], 0 offset:292 ; 4-byte Folded Spill
	ds_write2_b64 v0, v[1:2], v[41:42] offset1:4
	v_and_or_b32 v0, v54, s0, v61
	v_fma_f32 v3, v3, 2.0, -v43
	v_fma_f32 v4, v4, 2.0, -v44
	v_lshlrev_b32_e32 v0, 3, v0
	;; [unrolled: 9-line block ×3, first 2 shown]
	v_sub_f32_e32 v47, v7, v47
	v_sub_f32_e32 v48, v8, v48
	buffer_store_dword v0, off, s[20:23], 0 offset:300 ; 4-byte Folded Spill
	ds_write2_b64 v0, v[5:6], v[45:46] offset1:4
	v_and_or_b32 v0, v49, s0, v68
	v_fma_f32 v7, v7, 2.0, -v47
	v_fma_f32 v8, v8, 2.0, -v48
	v_lshlrev_b32_e32 v0, 3, v0
	v_and_b32_e32 v40, 7, v254
	buffer_store_dword v0, off, s[20:23], 0 offset:304 ; 4-byte Folded Spill
	ds_write2_b64 v0, v[7:8], v[47:48] offset1:4
	v_lshlrev_b32_e32 v0, 4, v40
	s_waitcnt lgkmcnt(0)
	; wave barrier
	s_waitcnt lgkmcnt(0)
	global_load_dwordx4 v[4:7], v0, s[14:15] offset:48
	v_and_b32_e32 v53, 7, v64
	v_and_b32_e32 v52, 7, v65
	v_lshlrev_b32_e32 v8, 4, v53
	global_load_dwordx4 v[12:15], v8, s[14:15] offset:48
	v_lshlrev_b32_e32 v0, 4, v52
	global_load_dwordx4 v[0:3], v0, s[14:15] offset:48
	v_and_b32_e32 v54, 7, v188
	v_lshlrev_b32_e32 v8, 4, v54
	global_load_dwordx4 v[8:11], v8, s[14:15] offset:48
	v_and_b32_e32 v55, 7, v81
	v_lshlrev_b32_e32 v16, 4, v55
	global_load_dwordx4 v[20:23], v16, s[14:15] offset:48
	v_and_b32_e32 v57, 7, v82
	v_and_b32_e32 v56, 7, v80
	v_lshlrev_b32_e32 v24, 4, v57
	global_load_dwordx4 v[28:31], v24, s[14:15] offset:48
	v_lshlrev_b32_e32 v16, 4, v56
	global_load_dwordx4 v[16:19], v16, s[14:15] offset:48
	v_and_b32_e32 v58, 7, v93
	v_lshlrev_b32_e32 v24, 4, v58
	global_load_dwordx4 v[24:27], v24, s[14:15] offset:48
	ds_read2_b64 v[32:35], v76 offset0:120 offset1:183
	s_movk_i32 s0, 0xab
	s_waitcnt vmcnt(7) lgkmcnt(0)
	v_mul_f32_e32 v36, v33, v5
	v_fma_f32 v41, v32, v4, -v36
	ds_read2_b64 v[36:39], v98 offset0:112 offset1:175
	v_mul_f32_e32 v42, v32, v5
	v_fmac_f32_e32 v42, v33, v4
	s_waitcnt vmcnt(5)
	v_mul_f32_e32 v32, v35, v1
	v_fma_f32 v59, v34, v0, -v32
	v_mul_f32_e32 v60, v34, v1
	s_waitcnt lgkmcnt(0)
	v_mul_f32_e32 v32, v37, v7
	v_fmac_f32_e32 v60, v35, v0
	v_fma_f32 v43, v36, v6, -v32
	ds_read2_b64 v[32:35], v97 offset0:118 offset1:181
	v_mul_f32_e32 v44, v36, v7
	v_mul_f32_e32 v36, v39, v3
	v_fma_f32 v61, v38, v2, -v36
	v_mul_f32_e32 v62, v38, v3
	s_waitcnt lgkmcnt(0)
	v_mul_f32_e32 v36, v33, v13
	v_fmac_f32_e32 v44, v37, v6
	v_fmac_f32_e32 v62, v39, v2
	v_fma_f32 v63, v32, v12, -v36
	ds_read2_b64 v[36:39], v108 offset0:110 offset1:173
	v_mul_f32_e32 v67, v32, v13
	s_waitcnt vmcnt(4)
	v_mul_f32_e32 v32, v35, v9
	v_fma_f32 v68, v34, v8, -v32
	v_mul_f32_e32 v69, v34, v9
	s_waitcnt lgkmcnt(0)
	v_mul_f32_e32 v32, v37, v15
	v_fmac_f32_e32 v67, v33, v12
	v_fmac_f32_e32 v69, v35, v8
	v_fma_f32 v70, v36, v14, -v32
	ds_read2_b64 v[32:35], v101 offset0:116 offset1:179
	v_mul_f32_e32 v71, v36, v15
	v_mul_f32_e32 v36, v39, v11
	v_fma_f32 v72, v38, v10, -v36
	v_mul_f32_e32 v73, v38, v11
	s_waitcnt vmcnt(3) lgkmcnt(0)
	v_mul_f32_e32 v36, v33, v21
	v_fmac_f32_e32 v71, v37, v14
	v_fmac_f32_e32 v73, v39, v10
	v_fma_f32 v74, v32, v20, -v36
	ds_read2_b64 v[36:39], v92 offset0:108 offset1:171
	v_mul_f32_e32 v75, v32, v21
	s_waitcnt vmcnt(1)
	v_mul_f32_e32 v32, v35, v17
	v_fma_f32 v77, v34, v16, -v32
	v_mul_f32_e32 v78, v34, v17
	s_waitcnt lgkmcnt(0)
	v_mul_f32_e32 v32, v37, v23
	v_fmac_f32_e32 v75, v33, v20
	v_fmac_f32_e32 v78, v35, v16
	v_fma_f32 v79, v36, v22, -v32
	ds_read2_b64 v[32:35], v96 offset0:114 offset1:177
	v_mul_f32_e32 v83, v36, v23
	v_mul_f32_e32 v36, v39, v19
	v_fma_f32 v84, v38, v18, -v36
	v_mul_f32_e32 v85, v38, v19
	s_waitcnt lgkmcnt(0)
	v_mul_f32_e32 v36, v33, v29
	v_fmac_f32_e32 v83, v37, v22
	v_fmac_f32_e32 v85, v39, v18
	v_fma_f32 v86, v32, v28, -v36
	ds_read2_b64 v[36:39], v100 offset0:106 offset1:169
	v_mul_f32_e32 v87, v32, v29
	s_waitcnt vmcnt(0)
	v_mul_f32_e32 v32, v35, v25
	v_fma_f32 v88, v34, v24, -v32
	v_mul_f32_e32 v89, v34, v25
	s_waitcnt lgkmcnt(0)
	v_mul_f32_e32 v32, v37, v31
	v_fmac_f32_e32 v87, v33, v28
	v_fmac_f32_e32 v89, v35, v24
	v_fma_f32 v90, v36, v30, -v32
	ds_read2_b64 v[32:35], v253 offset1:63
	v_mul_f32_e32 v91, v36, v31
	v_mul_f32_e32 v36, v39, v27
	v_fma_f32 v94, v38, v26, -v36
	v_fmac_f32_e32 v91, v37, v30
	s_waitcnt lgkmcnt(0)
	v_add_f32_e32 v36, v32, v41
	v_add_f32_e32 v48, v36, v43
	;; [unrolled: 1-line block ×6, first 2 shown]
	v_fma_f32 v33, -0.5, v36, v33
	v_lshrrev_b32_e32 v36, 3, v254
	v_fma_f32 v32, -0.5, v37, v32
	v_mul_u32_u24_e32 v36, 24, v36
	v_sub_f32_e32 v102, v42, v44
	v_sub_f32_e32 v103, v41, v43
	v_or_b32_e32 v104, v36, v40
	v_mov_b32_e32 v50, v32
	v_mov_b32_e32 v51, v33
	v_mul_f32_e32 v95, v38, v27
	v_fmac_f32_e32 v50, 0x3f5db3d7, v102
	v_fmac_f32_e32 v51, 0xbf5db3d7, v103
	v_lshlrev_b32_e32 v104, 3, v104
	v_fmac_f32_e32 v32, 0xbf5db3d7, v102
	v_fmac_f32_e32 v33, 0x3f5db3d7, v103
	;; [unrolled: 1-line block ×3, first 2 shown]
	ds_read2_b64 v[36:39], v253 offset0:126 offset1:189
	ds_read2_b64 v[40:43], v99 offset0:124 offset1:187
	;; [unrolled: 1-line block ×3, first 2 shown]
	s_waitcnt lgkmcnt(0)
	; wave barrier
	s_waitcnt lgkmcnt(0)
	ds_write2_b64 v104, v[48:49], v[50:51] offset1:8
	ds_write_b64 v104, v[32:33] offset:128
	v_add_f32_e32 v33, v59, v61
	v_add_f32_e32 v48, v60, v62
	;; [unrolled: 1-line block ×3, first 2 shown]
	v_fma_f32 v34, -0.5, v33, v34
	v_add_f32_e32 v33, v35, v60
	v_fmac_f32_e32 v35, -0.5, v48
	v_lshrrev_b32_e32 v48, 3, v65
	v_mul_u32_u24_e32 v48, 24, v48
	v_sub_f32_e32 v50, v60, v62
	v_sub_f32_e32 v51, v59, v61
	v_or_b32_e32 v52, v48, v52
	v_mov_b32_e32 v48, v34
	v_mov_b32_e32 v49, v35
	v_lshlrev_b32_e32 v52, 3, v52
	v_fmac_f32_e32 v34, 0xbf5db3d7, v50
	v_fmac_f32_e32 v35, 0x3f5db3d7, v51
	v_add_f32_e32 v32, v32, v61
	v_add_f32_e32 v33, v33, v62
	v_fmac_f32_e32 v48, 0x3f5db3d7, v50
	v_fmac_f32_e32 v49, 0xbf5db3d7, v51
	ds_write_b64 v52, v[34:35] offset:128
	v_add_f32_e32 v34, v63, v70
	ds_write2_b64 v52, v[32:33], v[48:49] offset1:8
	v_add_f32_e32 v32, v36, v63
	v_add_f32_e32 v35, v67, v71
	v_fma_f32 v34, -0.5, v34, v36
	v_lshrrev_b32_e32 v36, 3, v64
	v_fma_f32 v35, -0.5, v35, v37
	v_mul_u32_u24_e32 v36, 24, v36
	v_add_f32_e32 v33, v37, v67
	v_sub_f32_e32 v48, v67, v71
	v_sub_f32_e32 v49, v63, v70
	v_or_b32_e32 v50, v36, v53
	v_mov_b32_e32 v36, v34
	v_mov_b32_e32 v37, v35
	v_add_f32_e32 v32, v32, v70
	v_add_f32_e32 v33, v33, v71
	v_fmac_f32_e32 v36, 0x3f5db3d7, v48
	v_fmac_f32_e32 v37, 0xbf5db3d7, v49
	v_lshlrev_b32_e32 v50, 3, v50
	v_fmac_f32_e32 v34, 0xbf5db3d7, v48
	v_fmac_f32_e32 v35, 0x3f5db3d7, v49
	ds_write2_b64 v50, v[32:33], v[36:37] offset1:8
	ds_write_b64 v50, v[34:35] offset:128
	v_add_f32_e32 v33, v68, v72
	v_add_f32_e32 v34, v69, v73
	;; [unrolled: 1-line block ×3, first 2 shown]
	v_fma_f32 v38, -0.5, v33, v38
	v_add_f32_e32 v33, v39, v69
	v_fmac_f32_e32 v39, -0.5, v34
	v_lshrrev_b32_e32 v34, 3, v188
	v_mul_u32_u24_e32 v34, 24, v34
	v_sub_f32_e32 v36, v69, v73
	v_sub_f32_e32 v37, v68, v72
	v_or_b32_e32 v48, v34, v54
	v_mov_b32_e32 v34, v38
	v_mov_b32_e32 v35, v39
	v_add_f32_e32 v32, v32, v72
	v_add_f32_e32 v33, v33, v73
	v_fmac_f32_e32 v34, 0x3f5db3d7, v36
	v_fmac_f32_e32 v35, 0xbf5db3d7, v37
	v_lshlrev_b32_e32 v48, 3, v48
	ds_write2_b64 v48, v[32:33], v[34:35] offset1:8
	v_fmac_f32_e32 v38, 0xbf5db3d7, v36
	v_add_f32_e32 v35, v75, v83
	v_add_f32_e32 v34, v74, v79
	v_lshrrev_b32_e32 v36, 3, v81
	v_fmac_f32_e32 v39, 0x3f5db3d7, v37
	v_fma_f32 v34, -0.5, v34, v40
	v_fma_f32 v35, -0.5, v35, v41
	v_mul_u32_u24_e32 v36, 24, v36
	ds_write_b64 v48, v[38:39] offset:128
	v_add_f32_e32 v32, v40, v74
	v_add_f32_e32 v33, v41, v75
	v_sub_f32_e32 v38, v75, v83
	v_sub_f32_e32 v39, v74, v79
	v_or_b32_e32 v40, v36, v55
	v_mov_b32_e32 v36, v34
	v_mov_b32_e32 v37, v35
	v_add_f32_e32 v32, v32, v79
	v_add_f32_e32 v33, v33, v83
	v_fmac_f32_e32 v36, 0x3f5db3d7, v38
	v_fmac_f32_e32 v37, 0xbf5db3d7, v39
	v_lshlrev_b32_e32 v40, 3, v40
	v_fmac_f32_e32 v34, 0xbf5db3d7, v38
	v_fmac_f32_e32 v35, 0x3f5db3d7, v39
	ds_write2_b64 v40, v[32:33], v[36:37] offset1:8
	ds_write_b64 v40, v[34:35] offset:128
	v_add_f32_e32 v33, v77, v84
	v_add_f32_e32 v34, v78, v85
	;; [unrolled: 1-line block ×3, first 2 shown]
	v_fma_f32 v42, -0.5, v33, v42
	v_add_f32_e32 v33, v43, v78
	v_fmac_f32_e32 v43, -0.5, v34
	v_lshrrev_b32_e32 v34, 3, v80
	v_mul_u32_u24_e32 v34, 24, v34
	v_sub_f32_e32 v36, v78, v85
	v_sub_f32_e32 v37, v77, v84
	v_or_b32_e32 v38, v34, v56
	v_mov_b32_e32 v34, v42
	v_mov_b32_e32 v35, v43
	v_add_f32_e32 v32, v32, v84
	v_add_f32_e32 v33, v33, v85
	v_fmac_f32_e32 v34, 0x3f5db3d7, v36
	v_fmac_f32_e32 v35, 0xbf5db3d7, v37
	v_lshlrev_b32_e32 v38, 3, v38
	ds_write2_b64 v38, v[32:33], v[34:35] offset1:8
	v_fmac_f32_e32 v42, 0xbf5db3d7, v36
	v_add_f32_e32 v35, v87, v91
	v_add_f32_e32 v34, v86, v90
	v_lshrrev_b32_e32 v36, 3, v82
	v_fmac_f32_e32 v43, 0x3f5db3d7, v37
	v_fma_f32 v34, -0.5, v34, v44
	v_fma_f32 v35, -0.5, v35, v45
	v_mul_u32_u24_e32 v36, 24, v36
	buffer_store_dword v40, off, s[20:23], 0 offset:324 ; 4-byte Folded Spill
	buffer_store_dword v38, off, s[20:23], 0 offset:328 ; 4-byte Folded Spill
	ds_write_b64 v38, v[42:43] offset:128
	v_add_f32_e32 v32, v44, v86
	v_add_f32_e32 v33, v45, v87
	v_sub_f32_e32 v38, v87, v91
	v_sub_f32_e32 v39, v86, v90
	v_or_b32_e32 v40, v36, v57
	v_mov_b32_e32 v36, v34
	v_mov_b32_e32 v37, v35
	v_add_f32_e32 v32, v32, v90
	v_add_f32_e32 v33, v33, v91
	v_fmac_f32_e32 v36, 0x3f5db3d7, v38
	v_fmac_f32_e32 v37, 0xbf5db3d7, v39
	v_lshlrev_b32_e32 v40, 3, v40
	v_fmac_f32_e32 v34, 0xbf5db3d7, v38
	v_fmac_f32_e32 v35, 0x3f5db3d7, v39
	ds_write2_b64 v40, v[32:33], v[36:37] offset1:8
	ds_write_b64 v40, v[34:35] offset:128
	v_add_f32_e32 v33, v88, v94
	v_add_f32_e32 v34, v89, v95
	;; [unrolled: 1-line block ×3, first 2 shown]
	v_fma_f32 v46, -0.5, v33, v46
	v_add_f32_e32 v33, v47, v89
	v_fmac_f32_e32 v47, -0.5, v34
	v_lshrrev_b32_e32 v34, 3, v93
	v_mul_u32_u24_e32 v34, 24, v34
	v_sub_f32_e32 v36, v89, v95
	v_sub_f32_e32 v37, v88, v94
	v_or_b32_e32 v38, v34, v58
	v_mov_b32_e32 v34, v46
	v_mov_b32_e32 v35, v47
	v_add_f32_e32 v32, v32, v94
	v_add_f32_e32 v33, v33, v95
	v_fmac_f32_e32 v34, 0x3f5db3d7, v36
	v_fmac_f32_e32 v35, 0xbf5db3d7, v37
	v_lshlrev_b32_e32 v38, 3, v38
	ds_write2_b64 v38, v[32:33], v[34:35] offset1:8
	v_mul_lo_u16_sdwa v32, v254, s0 dst_sel:DWORD dst_unused:UNUSED_PAD src0_sel:BYTE_0 src1_sel:DWORD
	v_lshrrev_b16_e32 v71, 12, v32
	v_mul_lo_u16_e32 v32, 24, v71
	v_sub_u16_e32 v32, v254, v32
	v_and_b32_e32 v72, 0xff, v32
	v_mul_lo_u16_sdwa v32, v65, s0 dst_sel:DWORD dst_unused:UNUSED_PAD src0_sel:BYTE_0 src1_sel:DWORD
	v_fmac_f32_e32 v46, 0xbf5db3d7, v36
	v_fmac_f32_e32 v47, 0x3f5db3d7, v37
	v_lshrrev_b16_e32 v75, 12, v32
	v_lshlrev_b32_e32 v32, 4, v72
	buffer_store_dword v104, off, s[20:23], 0 offset:308 ; 4-byte Folded Spill
	buffer_store_dword v52, off, s[20:23], 0 offset:312 ; 4-byte Folded Spill
	;; [unrolled: 1-line block ×6, first 2 shown]
	ds_write_b64 v38, v[46:47] offset:128
	s_waitcnt lgkmcnt(0)
	; wave barrier
	s_waitcnt lgkmcnt(0)
	global_load_dwordx4 v[36:39], v32, s[14:15] offset:176
	v_mul_lo_u16_e32 v32, 24, v75
	v_sub_u16_e32 v32, v65, v32
	v_and_b32_e32 v79, 0xff, v32
	v_mul_lo_u16_sdwa v40, v64, s0 dst_sel:DWORD dst_unused:UNUSED_PAD src0_sel:BYTE_0 src1_sel:DWORD
	v_lshlrev_b32_e32 v32, 4, v79
	v_lshrrev_b16_e32 v91, 12, v40
	global_load_dwordx4 v[32:35], v32, s[14:15] offset:176
	v_mul_lo_u16_e32 v40, 24, v91
	v_sub_u16_e32 v40, v64, v40
	v_and_b32_e32 v95, 0xff, v40
	v_mul_lo_u16_sdwa v40, v188, s0 dst_sel:DWORD dst_unused:UNUSED_PAD src0_sel:BYTE_0 src1_sel:DWORD
	v_lshrrev_b16_e32 v104, 12, v40
	v_mul_lo_u16_e32 v40, 24, v104
	v_sub_u16_e32 v40, v188, v40
	v_and_b32_e32 v105, 0xff, v40
	v_lshlrev_b32_e32 v40, 4, v95
	v_lshlrev_b32_e32 v41, 4, v105
	global_load_dwordx4 v[44:47], v40, s[14:15] offset:176
	s_nop 0
	global_load_dwordx4 v[40:43], v41, s[14:15] offset:176
	s_mov_b32 s0, 0xaaab
	v_mul_u32_u24_sdwa v48, v81, s0 dst_sel:DWORD dst_unused:UNUSED_PAD src0_sel:WORD_0 src1_sel:DWORD
	v_lshrrev_b32_e32 v106, 20, v48
	v_mul_lo_u16_e32 v48, 24, v106
	v_sub_u16_e32 v107, v81, v48
	v_lshlrev_b16_e32 v48, 4, v107
	v_mov_b32_e32 v94, s15
	v_add_co_u32_e32 v48, vcc, s14, v48
	v_mul_u32_u24_sdwa v50, v80, s0 dst_sel:DWORD dst_unused:UNUSED_PAD src0_sel:WORD_0 src1_sel:DWORD
	v_addc_co_u32_e32 v49, vcc, 0, v94, vcc
	v_lshrrev_b32_e32 v113, 20, v50
	v_mul_lo_u16_e32 v50, 24, v113
	global_load_dwordx4 v[52:55], v[48:49], off offset:176
	v_sub_u16_e32 v114, v80, v50
	v_lshlrev_b16_e32 v50, 4, v114
	v_add_co_u32_e32 v48, vcc, s14, v50
	v_addc_co_u32_e32 v49, vcc, 0, v94, vcc
	global_load_dwordx4 v[48:51], v[48:49], off offset:176
	ds_read2_b64 v[56:59], v76 offset0:120 offset1:183
	ds_read2_b64 v[67:70], v96 offset0:114 offset1:177
	v_mul_lo_u16_e32 v71, 0x48, v71
	v_and_b32_e32 v71, 0xf8, v71
	v_add_lshl_u32 v150, v71, v72, 3
	v_mul_u32_u24_e32 v75, 0x48, v75
	v_add_lshl_u32 v75, v75, v79, 3
	s_waitcnt vmcnt(5) lgkmcnt(1)
	v_mul_f32_e32 v60, v57, v37
	v_fma_f32 v73, v56, v36, -v60
	ds_read2_b64 v[60:63], v98 offset0:112 offset1:175
	v_mul_f32_e32 v74, v56, v37
	v_fmac_f32_e32 v74, v57, v36
	s_waitcnt vmcnt(4)
	v_mul_f32_e32 v56, v59, v33
	v_fma_f32 v115, v58, v32, -v56
	v_mul_f32_e32 v116, v58, v33
	s_waitcnt lgkmcnt(0)
	v_mul_f32_e32 v56, v61, v39
	v_fmac_f32_e32 v116, v59, v32
	v_fma_f32 v83, v60, v38, -v56
	ds_read2_b64 v[56:59], v97 offset0:118 offset1:181
	v_mul_f32_e32 v84, v60, v39
	v_mul_f32_e32 v60, v63, v35
	v_fma_f32 v117, v62, v34, -v60
	v_mul_f32_e32 v118, v62, v35
	s_waitcnt vmcnt(3) lgkmcnt(0)
	v_mul_f32_e32 v60, v57, v45
	v_fmac_f32_e32 v84, v61, v38
	v_fmac_f32_e32 v118, v63, v34
	v_fma_f32 v119, v56, v44, -v60
	ds_read2_b64 v[60:63], v108 offset0:110 offset1:173
	v_mul_f32_e32 v120, v56, v45
	s_waitcnt vmcnt(2)
	v_mul_f32_e32 v56, v59, v41
	v_fma_f32 v121, v58, v40, -v56
	v_mul_f32_e32 v122, v58, v41
	s_waitcnt lgkmcnt(0)
	v_mul_f32_e32 v56, v61, v47
	v_fmac_f32_e32 v120, v57, v44
	v_fmac_f32_e32 v122, v59, v40
	v_fma_f32 v123, v60, v46, -v56
	ds_read2_b64 v[56:59], v101 offset0:116 offset1:179
	v_mul_f32_e32 v124, v60, v47
	v_mul_f32_e32 v60, v63, v43
	v_fma_f32 v125, v62, v42, -v60
	v_mul_f32_e32 v126, v62, v43
	s_waitcnt vmcnt(1) lgkmcnt(0)
	v_mul_f32_e32 v60, v57, v53
	v_fmac_f32_e32 v124, v61, v46
	v_fmac_f32_e32 v126, v63, v42
	v_fma_f32 v127, v56, v52, -v60
	ds_read2_b64 v[60:63], v92 offset0:108 offset1:171
	v_mul_f32_e32 v128, v56, v53
	s_waitcnt vmcnt(0)
	v_mul_f32_e32 v56, v59, v49
	v_fma_f32 v129, v58, v48, -v56
	v_mul_f32_e32 v130, v58, v49
	s_waitcnt lgkmcnt(0)
	v_mul_f32_e32 v56, v61, v55
	v_fma_f32 v131, v60, v54, -v56
	v_mul_f32_e32 v56, v63, v51
	v_fma_f32 v133, v62, v50, -v56
	v_mul_u32_u24_sdwa v56, v82, s0 dst_sel:DWORD dst_unused:UNUSED_PAD src0_sel:WORD_0 src1_sel:DWORD
	v_lshrrev_b32_e32 v135, 20, v56
	v_mul_lo_u16_e32 v56, 24, v135
	v_mul_u32_u24_sdwa v58, v93, s0 dst_sel:DWORD dst_unused:UNUSED_PAD src0_sel:WORD_0 src1_sel:DWORD
	v_sub_u16_e32 v136, v82, v56
	v_lshrrev_b32_e32 v137, 20, v58
	v_lshlrev_b16_e32 v56, 4, v136
	v_mul_lo_u16_e32 v58, 24, v137
	v_add_co_u32_e32 v56, vcc, s14, v56
	v_sub_u16_e32 v138, v93, v58
	v_fmac_f32_e32 v128, v57, v52
	v_mul_f32_e32 v132, v60, v55
	v_mul_f32_e32 v134, v62, v51
	v_addc_co_u32_e32 v57, vcc, 0, v94, vcc
	v_lshlrev_b16_e32 v58, 4, v138
	v_fmac_f32_e32 v132, v61, v54
	v_fmac_f32_e32 v134, v63, v50
	global_load_dwordx4 v[60:63], v[56:57], off offset:176
	v_add_co_u32_e32 v56, vcc, s14, v58
	v_addc_co_u32_e32 v57, vcc, 0, v94, vcc
	v_fmac_f32_e32 v130, v59, v48
	global_load_dwordx4 v[56:59], v[56:57], off offset:176
	v_sub_f32_e32 v147, v74, v84
	v_sub_f32_e32 v148, v73, v83
	s_movk_i32 s0, 0x48
	s_waitcnt vmcnt(1)
	v_mul_f32_e32 v77, v68, v61
	v_fma_f32 v139, v67, v60, -v77
	v_mul_f32_e32 v140, v67, v61
	v_fmac_f32_e32 v140, v68, v60
	s_waitcnt vmcnt(0)
	v_mul_f32_e32 v67, v70, v57
	v_mul_f32_e32 v142, v69, v57
	v_fma_f32 v141, v69, v56, -v67
	v_fmac_f32_e32 v142, v70, v56
	ds_read2_b64 v[67:70], v100 offset0:106 offset1:169
	s_waitcnt lgkmcnt(0)
	v_mul_f32_e32 v77, v68, v63
	v_fma_f32 v143, v67, v62, -v77
	v_mul_f32_e32 v144, v67, v63
	v_mul_f32_e32 v67, v70, v59
	;; [unrolled: 1-line block ×3, first 2 shown]
	v_fmac_f32_e32 v144, v68, v62
	v_fma_f32 v145, v69, v58, -v67
	v_fmac_f32_e32 v146, v70, v58
	ds_read2_b64 v[67:70], v253 offset1:63
	s_waitcnt lgkmcnt(0)
	v_add_f32_e32 v78, v68, v74
	v_add_f32_e32 v78, v78, v84
	v_add_f32_e32 v74, v74, v84
	v_add_f32_e32 v84, v73, v83
	v_add_f32_e32 v77, v67, v73
	v_fma_f32 v67, -0.5, v84, v67
	v_fma_f32 v68, -0.5, v74, v68
	v_mov_b32_e32 v102, v67
	v_mov_b32_e32 v103, v68
	v_add_f32_e32 v77, v77, v83
	v_fmac_f32_e32 v102, 0x3f5db3d7, v147
	v_fmac_f32_e32 v103, 0xbf5db3d7, v148
	v_fmac_f32_e32 v67, 0xbf5db3d7, v147
	v_fmac_f32_e32 v68, 0x3f5db3d7, v148
	ds_read2_b64 v[71:74], v253 offset0:126 offset1:189
	ds_read2_b64 v[83:86], v99 offset0:124 offset1:187
	;; [unrolled: 1-line block ×3, first 2 shown]
	s_waitcnt lgkmcnt(0)
	; wave barrier
	s_waitcnt lgkmcnt(0)
	ds_write2_b64 v150, v[77:78], v[102:103] offset1:24
	ds_write_b64 v150, v[67:68] offset:384
	v_add_f32_e32 v68, v115, v117
	v_add_f32_e32 v77, v116, v118
	;; [unrolled: 1-line block ×3, first 2 shown]
	v_fma_f32 v69, -0.5, v68, v69
	v_add_f32_e32 v68, v70, v116
	v_sub_f32_e32 v102, v116, v118
	v_fmac_f32_e32 v70, -0.5, v77
	v_sub_f32_e32 v103, v115, v117
	v_mov_b32_e32 v77, v69
	v_mov_b32_e32 v78, v70
	v_fmac_f32_e32 v69, 0xbf5db3d7, v102
	v_fmac_f32_e32 v70, 0x3f5db3d7, v103
	v_add_f32_e32 v67, v67, v117
	v_add_f32_e32 v68, v68, v118
	v_fmac_f32_e32 v77, 0x3f5db3d7, v102
	v_fmac_f32_e32 v78, 0xbf5db3d7, v103
	ds_write_b64 v75, v[69:70] offset:384
	v_add_f32_e32 v70, v120, v124
	v_add_f32_e32 v69, v119, v123
	ds_write2_b64 v75, v[67:68], v[77:78] offset1:24
	v_add_f32_e32 v67, v71, v119
	v_fma_f32 v69, -0.5, v69, v71
	v_fma_f32 v70, -0.5, v70, v72
	v_mul_u32_u24_e32 v71, 0x48, v91
	buffer_store_dword v75, off, s[20:23], 0 offset:344 ; 4-byte Folded Spill
	v_add_f32_e32 v68, v72, v120
	v_sub_f32_e32 v75, v120, v124
	v_sub_f32_e32 v77, v119, v123
	v_add_lshl_u32 v78, v71, v95, 3
	v_mov_b32_e32 v71, v69
	v_mov_b32_e32 v72, v70
	v_add_f32_e32 v67, v67, v123
	v_add_f32_e32 v68, v68, v124
	v_fmac_f32_e32 v71, 0x3f5db3d7, v75
	v_fmac_f32_e32 v72, 0xbf5db3d7, v77
	;; [unrolled: 1-line block ×4, first 2 shown]
	ds_write2_b64 v78, v[67:68], v[71:72] offset1:24
	ds_write_b64 v78, v[69:70] offset:384
	v_add_f32_e32 v68, v121, v125
	v_add_f32_e32 v69, v122, v126
	;; [unrolled: 1-line block ×3, first 2 shown]
	v_fma_f32 v73, -0.5, v68, v73
	v_add_f32_e32 v68, v74, v122
	v_fmac_f32_e32 v74, -0.5, v69
	v_mul_u32_u24_e32 v69, 0x48, v104
	v_sub_f32_e32 v71, v122, v126
	v_sub_f32_e32 v72, v121, v125
	v_add_lshl_u32 v75, v69, v105, 3
	v_mov_b32_e32 v69, v73
	v_mov_b32_e32 v70, v74
	v_add_f32_e32 v67, v67, v125
	v_add_f32_e32 v68, v68, v126
	v_fmac_f32_e32 v69, 0x3f5db3d7, v71
	v_fmac_f32_e32 v70, 0xbf5db3d7, v72
	ds_write2_b64 v75, v[67:68], v[69:70] offset1:24
	v_add_f32_e32 v70, v128, v132
	v_add_f32_e32 v69, v127, v131
	v_fmac_f32_e32 v73, 0xbf5db3d7, v71
	v_fmac_f32_e32 v74, 0x3f5db3d7, v72
	v_fma_f32 v69, -0.5, v69, v83
	v_fma_f32 v70, -0.5, v70, v84
	buffer_store_dword v75, off, s[20:23], 0 offset:352 ; 4-byte Folded Spill
	ds_write_b64 v75, v[73:74] offset:384
	v_add_f32_e32 v67, v83, v127
	v_add_f32_e32 v68, v84, v128
	v_sub_f32_e32 v73, v128, v132
	v_sub_f32_e32 v74, v127, v131
	v_mad_legacy_u16 v75, v106, s0, v107
	v_mov_b32_e32 v71, v69
	v_mov_b32_e32 v72, v70
	v_add_f32_e32 v67, v67, v131
	v_add_f32_e32 v68, v68, v132
	v_fmac_f32_e32 v71, 0x3f5db3d7, v73
	v_fmac_f32_e32 v72, 0xbf5db3d7, v74
	v_lshlrev_b32_e32 v75, 3, v75
	v_fmac_f32_e32 v69, 0xbf5db3d7, v73
	v_fmac_f32_e32 v70, 0x3f5db3d7, v74
	ds_write2_b64 v75, v[67:68], v[71:72] offset1:24
	ds_write_b64 v75, v[69:70] offset:384
	v_add_f32_e32 v68, v129, v133
	v_add_f32_e32 v69, v130, v134
	;; [unrolled: 1-line block ×3, first 2 shown]
	v_fma_f32 v85, -0.5, v68, v85
	v_add_f32_e32 v68, v86, v130
	v_fmac_f32_e32 v86, -0.5, v69
	v_sub_f32_e32 v71, v130, v134
	v_sub_f32_e32 v72, v129, v133
	v_mad_legacy_u16 v73, v113, s0, v114
	v_mov_b32_e32 v69, v85
	v_mov_b32_e32 v70, v86
	v_add_f32_e32 v67, v67, v133
	v_add_f32_e32 v68, v68, v134
	v_fmac_f32_e32 v69, 0x3f5db3d7, v71
	v_fmac_f32_e32 v70, 0xbf5db3d7, v72
	v_lshlrev_b32_e32 v73, 3, v73
	ds_write2_b64 v73, v[67:68], v[69:70] offset1:24
	v_add_f32_e32 v70, v140, v144
	v_add_f32_e32 v69, v139, v143
	v_fmac_f32_e32 v85, 0xbf5db3d7, v71
	v_fmac_f32_e32 v86, 0x3f5db3d7, v72
	v_fma_f32 v69, -0.5, v69, v87
	v_fma_f32 v70, -0.5, v70, v88
	buffer_store_dword v75, off, s[20:23], 0 offset:356 ; 4-byte Folded Spill
	buffer_store_dword v73, off, s[20:23], 0 offset:360 ; 4-byte Folded Spill
	ds_write_b64 v73, v[85:86] offset:384
	v_add_f32_e32 v67, v87, v139
	v_add_f32_e32 v68, v88, v140
	v_sub_f32_e32 v73, v140, v144
	v_sub_f32_e32 v74, v139, v143
	v_mad_legacy_u16 v75, v135, s0, v136
	v_mov_b32_e32 v71, v69
	v_mov_b32_e32 v72, v70
	v_add_f32_e32 v67, v67, v143
	v_add_f32_e32 v68, v68, v144
	v_fmac_f32_e32 v71, 0x3f5db3d7, v73
	v_fmac_f32_e32 v72, 0xbf5db3d7, v74
	v_lshlrev_b32_e32 v75, 3, v75
	v_fmac_f32_e32 v69, 0xbf5db3d7, v73
	v_fmac_f32_e32 v70, 0x3f5db3d7, v74
	ds_write2_b64 v75, v[67:68], v[71:72] offset1:24
	ds_write_b64 v75, v[69:70] offset:384
	v_add_f32_e32 v68, v141, v145
	v_add_f32_e32 v69, v142, v146
	;; [unrolled: 1-line block ×3, first 2 shown]
	v_fma_f32 v89, -0.5, v68, v89
	v_add_f32_e32 v68, v90, v142
	v_fmac_f32_e32 v90, -0.5, v69
	v_sub_f32_e32 v71, v142, v146
	v_sub_f32_e32 v72, v141, v145
	v_mad_legacy_u16 v73, v137, s0, v138
	v_mov_b32_e32 v69, v89
	v_mov_b32_e32 v70, v90
	v_add_f32_e32 v67, v67, v145
	v_add_f32_e32 v68, v68, v146
	v_fmac_f32_e32 v69, 0x3f5db3d7, v71
	v_fmac_f32_e32 v70, 0xbf5db3d7, v72
	v_lshlrev_b32_e32 v73, 3, v73
	ds_write2_b64 v73, v[67:68], v[69:70] offset1:24
	v_add_co_u32_e32 v67, vcc, -9, v254
	v_addc_co_u32_e64 v68, s[0:1], 0, -1, vcc
	v_cmp_gt_u16_e32 vcc, 9, v254
	v_cndmask_b32_e32 v107, v68, v66, vcc
	v_cndmask_b32_e32 v106, v67, v65, vcc
	v_lshlrev_b64 v[65:66], 4, v[106:107]
	v_fmac_f32_e32 v89, 0xbf5db3d7, v71
	v_fmac_f32_e32 v90, 0x3f5db3d7, v72
	buffer_store_dword v150, off, s[20:23], 0 offset:340 ; 4-byte Folded Spill
	buffer_store_dword v78, off, s[20:23], 0 offset:348 ; 4-byte Folded Spill
	;; [unrolled: 1-line block ×4, first 2 shown]
	ds_write_b64 v73, v[89:90] offset:384
	s_waitcnt lgkmcnt(0)
	; wave barrier
	s_waitcnt lgkmcnt(0)
	global_load_dwordx4 v[68:71], v149, s[14:15] offset:560
	v_add_co_u32_e32 v65, vcc, s14, v65
	v_addc_co_u32_e32 v66, vcc, v94, v66, vcc
	v_mov_b32_e32 v91, 57
	global_load_dwordx4 v[72:75], v[65:66], off offset:560
	v_mul_lo_u16_sdwa v65, v64, v91 dst_sel:DWORD dst_unused:UNUSED_PAD src0_sel:BYTE_0 src1_sel:DWORD
	v_lshrrev_b16_e32 v125, 12, v65
	v_mul_lo_u16_e32 v65, 0x48, v125
	v_sub_u16_e32 v64, v64, v65
	v_and_b32_e32 v126, 0xff, v64
	v_lshlrev_b32_e32 v64, 4, v126
	global_load_dwordx4 v[64:67], v64, s[14:15] offset:560
	ds_read2_b64 v[76:79], v76 offset0:120 offset1:183
	ds_read2_b64 v[87:90], v97 offset0:118 offset1:181
	s_mov_b32 s0, 0xe38f
	ds_read2_b64 v[102:105], v101 offset0:116 offset1:179
	s_waitcnt vmcnt(2) lgkmcnt(2)
	v_mul_f32_e32 v83, v77, v69
	v_fma_f32 v107, v76, v68, -v83
	ds_read2_b64 v[83:86], v98 offset0:112 offset1:175
	v_mul_f32_e32 v113, v76, v69
	v_fmac_f32_e32 v113, v77, v68
	s_waitcnt vmcnt(1)
	v_mul_f32_e32 v76, v79, v73
	v_fma_f32 v127, v78, v72, -v76
	s_waitcnt lgkmcnt(0)
	v_mul_f32_e32 v76, v84, v71
	v_fma_f32 v114, v83, v70, -v76
	v_mul_f32_e32 v76, v86, v75
	v_fma_f32 v129, v85, v74, -v76
	v_mul_f32_e32 v128, v78, v73
	s_waitcnt vmcnt(0)
	v_mul_f32_e32 v76, v88, v65
	v_fma_f32 v131, v87, v64, -v76
	v_mul_lo_u16_sdwa v76, v188, v91 dst_sel:DWORD dst_unused:UNUSED_PAD src0_sel:BYTE_0 src1_sel:DWORD
	v_lshrrev_b16_e32 v133, 12, v76
	v_mul_lo_u16_e32 v76, 0x48, v133
	v_sub_u16_e32 v76, v188, v76
	v_and_b32_e32 v134, 0xff, v76
	v_lshlrev_b32_e32 v76, 4, v134
	v_fmac_f32_e32 v128, v79, v72
	global_load_dwordx4 v[76:79], v76, s[14:15] offset:560
	v_mul_f32_e32 v115, v83, v71
	v_mul_f32_e32 v130, v85, v75
	v_fmac_f32_e32 v115, v84, v70
	v_fmac_f32_e32 v130, v86, v74
	v_mul_f32_e32 v132, v87, v65
	v_fmac_f32_e32 v132, v88, v64
	v_sub_f32_e32 v168, v113, v115
	s_waitcnt vmcnt(0)
	v_mul_f32_e32 v83, v90, v77
	v_fma_f32 v135, v89, v76, -v83
	ds_read2_b64 v[83:86], v108 offset0:110 offset1:173
	v_mul_f32_e32 v136, v89, v77
	v_fmac_f32_e32 v136, v90, v76
	s_waitcnt lgkmcnt(0)
	v_mul_f32_e32 v87, v84, v67
	v_fma_f32 v137, v83, v66, -v87
	v_mul_f32_e32 v138, v83, v67
	v_mul_f32_e32 v83, v86, v79
	v_fma_f32 v139, v85, v78, -v83
	v_mul_u32_u24_sdwa v83, v81, s0 dst_sel:DWORD dst_unused:UNUSED_PAD src0_sel:WORD_0 src1_sel:DWORD
	v_lshrrev_b32_e32 v141, 22, v83
	v_mul_lo_u16_e32 v83, 0x48, v141
	v_sub_u16_e32 v142, v81, v83
	v_mul_u32_u24_sdwa v81, v80, s0 dst_sel:DWORD dst_unused:UNUSED_PAD src0_sel:WORD_0 src1_sel:DWORD
	v_lshrrev_b32_e32 v143, 22, v81
	v_mul_lo_u16_e32 v81, 0x48, v143
	v_sub_u16_e32 v144, v80, v81
	;; [unrolled: 4-line block ×3, first 2 shown]
	v_lshlrev_b16_e32 v80, 4, v142
	v_add_co_u32_e32 v80, vcc, s14, v80
	v_addc_co_u32_e32 v81, vcc, 0, v94, vcc
	global_load_dwordx4 v[80:83], v[80:81], off offset:560
	v_fmac_f32_e32 v138, v84, v66
	v_mul_f32_e32 v140, v85, v79
	v_fmac_f32_e32 v140, v86, v78
	v_lshlrev_b16_e32 v86, 4, v150
	s_waitcnt vmcnt(0)
	v_mul_f32_e32 v84, v103, v81
	v_fma_f32 v151, v102, v80, -v84
	v_lshlrev_b16_e32 v84, 4, v144
	v_add_co_u32_e32 v84, vcc, s14, v84
	v_addc_co_u32_e32 v85, vcc, 0, v94, vcc
	v_add_co_u32_e32 v86, vcc, s14, v86
	v_addc_co_u32_e32 v87, vcc, 0, v94, vcc
	global_load_dwordx4 v[88:91], v[84:85], off offset:560
	s_nop 0
	global_load_dwordx4 v[84:87], v[86:87], off offset:560
	v_mul_f32_e32 v152, v102, v81
	v_fmac_f32_e32 v152, v103, v80
	s_waitcnt vmcnt(1)
	v_mul_f32_e32 v95, v105, v89
	v_mul_f32_e32 v154, v104, v89
	v_fma_f32 v153, v104, v88, -v95
	v_fmac_f32_e32 v154, v105, v88
	ds_read2_b64 v[102:105], v92 offset0:108 offset1:171
	s_waitcnt lgkmcnt(0)
	v_mul_f32_e32 v92, v103, v83
	v_fma_f32 v155, v102, v82, -v92
	v_mul_f32_e32 v92, v105, v91
	v_mul_f32_e32 v156, v102, v83
	v_fma_f32 v157, v104, v90, -v92
	v_mul_f32_e32 v158, v104, v91
	v_mul_u32_u24_sdwa v92, v93, s0 dst_sel:DWORD dst_unused:UNUSED_PAD src0_sel:WORD_0 src1_sel:DWORD
	v_fmac_f32_e32 v156, v103, v82
	v_fmac_f32_e32 v158, v105, v90
	v_lshrrev_b32_e32 v92, 22, v92
	ds_read2_b64 v[102:105], v96 offset0:114 offset1:177
	v_mul_lo_u16_e32 v92, 0x48, v92
	v_sub_u16_e32 v159, v93, v92
	v_lshlrev_b16_e32 v92, 4, v159
	v_add_co_u32_e32 v92, vcc, s14, v92
	v_addc_co_u32_e32 v93, vcc, 0, v94, vcc
	s_waitcnt vmcnt(0) lgkmcnt(0)
	v_mul_f32_e32 v94, v103, v85
	v_fma_f32 v160, v102, v84, -v94
	global_load_dwordx4 v[92:95], v[92:93], off offset:560
	v_mul_f32_e32 v161, v102, v85
	v_fmac_f32_e32 v161, v103, v84
	v_cmp_lt_u16_e32 vcc, 8, v254
	s_movk_i32 s0, 0xd8
	s_waitcnt vmcnt(0)
	v_mul_f32_e32 v102, v105, v93
	v_mul_f32_e32 v163, v104, v93
	v_fma_f32 v162, v104, v92, -v102
	v_fmac_f32_e32 v163, v105, v92
	ds_read2_b64 v[102:105], v100 offset0:106 offset1:169
	s_waitcnt lgkmcnt(0)
	v_mul_f32_e32 v116, v103, v87
	v_fma_f32 v164, v102, v86, -v116
	v_mul_f32_e32 v165, v102, v87
	v_mul_f32_e32 v102, v105, v95
	;; [unrolled: 1-line block ×3, first 2 shown]
	v_fmac_f32_e32 v165, v103, v86
	v_fma_f32 v166, v104, v94, -v102
	v_fmac_f32_e32 v167, v105, v94
	ds_read2_b64 v[102:105], v253 offset1:63
	s_waitcnt lgkmcnt(0)
	v_add_f32_e32 v116, v102, v107
	v_add_f32_e32 v121, v116, v114
	;; [unrolled: 1-line block ×6, first 2 shown]
	v_fma_f32 v102, -0.5, v115, v102
	v_fma_f32 v103, -0.5, v113, v103
	v_sub_f32_e32 v107, v107, v114
	v_mov_b32_e32 v123, v102
	v_mov_b32_e32 v124, v103
	ds_read2_b64 v[113:116], v99 offset0:124 offset1:187
	ds_read2_b64 v[117:120], v253 offset0:126 offset1:189
	;; [unrolled: 1-line block ×3, first 2 shown]
	v_mov_b32_e32 v99, 0xd8
	v_fmac_f32_e32 v123, 0x3f5db3d7, v168
	v_fmac_f32_e32 v124, 0xbf5db3d7, v107
	;; [unrolled: 1-line block ×4, first 2 shown]
	v_cndmask_b32_e32 v99, 0, v99, vcc
	s_waitcnt lgkmcnt(0)
	; wave barrier
	s_waitcnt lgkmcnt(0)
	ds_write2_b64 v253, v[121:122], v[123:124] offset1:72
	ds_write_b64 v253, v[102:103] offset:1152
	v_add_lshl_u32 v122, v106, v99, 3
	v_add_f32_e32 v99, v104, v127
	v_add_f32_e32 v102, v127, v129
	v_fma_f32 v104, -0.5, v102, v104
	v_add_f32_e32 v102, v99, v129
	v_add_f32_e32 v99, v105, v128
	;; [unrolled: 1-line block ×4, first 2 shown]
	v_sub_f32_e32 v99, v128, v130
	v_fmac_f32_e32 v105, -0.5, v106
	v_sub_f32_e32 v121, v127, v129
	v_mov_b32_e32 v106, v104
	v_mov_b32_e32 v107, v105
	v_fmac_f32_e32 v104, 0xbf5db3d7, v99
	v_fmac_f32_e32 v105, 0x3f5db3d7, v121
	;; [unrolled: 1-line block ×4, first 2 shown]
	ds_write_b64 v122, v[104:105] offset:1152
	v_add_f32_e32 v99, v117, v131
	v_add_f32_e32 v105, v132, v138
	;; [unrolled: 1-line block ×3, first 2 shown]
	ds_write2_b64 v122, v[102:103], v[106:107] offset1:72
	v_add_f32_e32 v102, v99, v137
	v_add_f32_e32 v99, v118, v132
	v_fma_f32 v104, -0.5, v104, v117
	v_fma_f32 v105, -0.5, v105, v118
	v_mul_u32_u24_e32 v106, 0xd8, v125
	v_add_f32_e32 v103, v99, v138
	v_sub_f32_e32 v99, v132, v138
	v_sub_f32_e32 v117, v131, v137
	v_add_lshl_u32 v118, v106, v126, 3
	v_mov_b32_e32 v106, v104
	v_mov_b32_e32 v107, v105
	v_fmac_f32_e32 v106, 0x3f5db3d7, v99
	v_fmac_f32_e32 v107, 0xbf5db3d7, v117
	;; [unrolled: 1-line block ×4, first 2 shown]
	ds_write2_b64 v118, v[102:103], v[106:107] offset1:72
	ds_write_b64 v118, v[104:105] offset:1152
	v_add_f32_e32 v99, v119, v135
	v_add_f32_e32 v102, v135, v139
	;; [unrolled: 1-line block ×3, first 2 shown]
	v_fma_f32 v119, -0.5, v102, v119
	v_add_f32_e32 v102, v99, v139
	v_add_f32_e32 v99, v120, v136
	v_fmac_f32_e32 v120, -0.5, v104
	v_mul_u32_u24_e32 v104, 0xd8, v133
	v_add_f32_e32 v103, v99, v140
	v_sub_f32_e32 v99, v136, v140
	v_sub_f32_e32 v106, v135, v139
	v_add_lshl_u32 v107, v104, v134, 3
	v_mov_b32_e32 v104, v119
	v_mov_b32_e32 v105, v120
	v_fmac_f32_e32 v104, 0x3f5db3d7, v99
	v_fmac_f32_e32 v105, 0xbf5db3d7, v106
	ds_write2_b64 v107, v[102:103], v[104:105] offset1:72
	v_fmac_f32_e32 v119, 0xbf5db3d7, v99
	v_add_f32_e32 v99, v113, v151
	v_add_f32_e32 v105, v152, v156
	;; [unrolled: 1-line block ×3, first 2 shown]
	v_fmac_f32_e32 v120, 0x3f5db3d7, v106
	v_add_f32_e32 v102, v99, v155
	v_add_f32_e32 v99, v114, v152
	v_fma_f32 v104, -0.5, v104, v113
	v_fma_f32 v105, -0.5, v105, v114
	buffer_store_dword v107, off, s[20:23], 0 offset:380 ; 4-byte Folded Spill
	ds_write_b64 v107, v[119:120] offset:1152
	v_add_f32_e32 v103, v99, v156
	v_sub_f32_e32 v99, v152, v156
	v_sub_f32_e32 v113, v151, v155
	v_mad_legacy_u16 v114, v141, s0, v142
	v_mov_b32_e32 v106, v104
	v_mov_b32_e32 v107, v105
	v_fmac_f32_e32 v106, 0x3f5db3d7, v99
	v_fmac_f32_e32 v107, 0xbf5db3d7, v113
	v_lshlrev_b32_e32 v114, 3, v114
	v_fmac_f32_e32 v104, 0xbf5db3d7, v99
	v_fmac_f32_e32 v105, 0x3f5db3d7, v113
	ds_write2_b64 v114, v[102:103], v[106:107] offset1:72
	ds_write_b64 v114, v[104:105] offset:1152
	v_add_f32_e32 v99, v115, v153
	v_add_f32_e32 v102, v153, v157
	;; [unrolled: 1-line block ×3, first 2 shown]
	v_fma_f32 v115, -0.5, v102, v115
	v_add_f32_e32 v102, v99, v157
	v_add_f32_e32 v99, v116, v154
	v_fmac_f32_e32 v116, -0.5, v104
	v_add_f32_e32 v103, v99, v158
	v_sub_f32_e32 v99, v154, v158
	v_sub_f32_e32 v106, v153, v157
	v_mad_legacy_u16 v107, v143, s0, v144
	v_mov_b32_e32 v104, v115
	v_mov_b32_e32 v105, v116
	v_fmac_f32_e32 v104, 0x3f5db3d7, v99
	v_fmac_f32_e32 v105, 0xbf5db3d7, v106
	v_lshlrev_b32_e32 v107, 3, v107
	ds_write2_b64 v107, v[102:103], v[104:105] offset1:72
	v_fmac_f32_e32 v115, 0xbf5db3d7, v99
	v_add_f32_e32 v99, v146, v160
	v_add_f32_e32 v105, v161, v165
	;; [unrolled: 1-line block ×3, first 2 shown]
	v_fmac_f32_e32 v116, 0x3f5db3d7, v106
	v_add_f32_e32 v102, v99, v164
	v_add_f32_e32 v99, v147, v161
	v_fma_f32 v104, -0.5, v104, v146
	v_fma_f32 v105, -0.5, v105, v147
	buffer_store_dword v114, off, s[20:23], 0 offset:384 ; 4-byte Folded Spill
	buffer_store_dword v107, off, s[20:23], 0 offset:388 ; 4-byte Folded Spill
	ds_write_b64 v107, v[115:116] offset:1152
	v_add_f32_e32 v103, v99, v165
	v_sub_f32_e32 v99, v161, v165
	v_sub_f32_e32 v113, v160, v164
	v_mad_legacy_u16 v114, v145, s0, v150
	v_mov_b32_e32 v106, v104
	v_mov_b32_e32 v107, v105
	v_fmac_f32_e32 v106, 0x3f5db3d7, v99
	v_fmac_f32_e32 v107, 0xbf5db3d7, v113
	v_lshlrev_b32_e32 v114, 3, v114
	ds_write2_b64 v114, v[102:103], v[106:107] offset1:72
	v_add_f32_e32 v102, v162, v166
	v_fmac_f32_e32 v104, 0xbf5db3d7, v99
	v_add_f32_e32 v99, v148, v162
	v_fma_f32 v148, -0.5, v102, v148
	v_add_f32_e32 v144, v99, v166
	v_mov_b32_e32 v146, v148
	v_sub_f32_e32 v99, v163, v167
	v_fmac_f32_e32 v146, 0x3f5db3d7, v99
	v_fmac_f32_e32 v148, 0xbf5db3d7, v99
	v_add_f32_e32 v99, v149, v163
	v_add_f32_e32 v145, v99, v167
	;; [unrolled: 1-line block ×3, first 2 shown]
	v_fmac_f32_e32 v149, -0.5, v99
	v_sub_f32_e32 v99, v162, v166
	v_mov_b32_e32 v147, v149
	v_lshlrev_b32_e32 v102, 3, v159
	v_fmac_f32_e32 v105, 0x3f5db3d7, v113
	v_fmac_f32_e32 v147, 0xbf5db3d7, v99
	;; [unrolled: 1-line block ×3, first 2 shown]
	v_add_u32_e32 v99, 0x2800, v102
	buffer_store_dword v122, off, s[20:23], 0 offset:372 ; 4-byte Folded Spill
	buffer_store_dword v118, off, s[20:23], 0 offset:376 ; 4-byte Folded Spill
	;; [unrolled: 1-line block ×3, first 2 shown]
	ds_write_b64 v114, v[104:105] offset:1152
	ds_write2_b64 v99, v[144:145], v[146:147] offset0:16 offset1:88
	buffer_store_dword v102, off, s[20:23], 0 offset:396 ; 4-byte Folded Spill
	ds_write_b64 v102, v[148:149] offset:11520
	s_waitcnt lgkmcnt(0)
	; wave barrier
	s_waitcnt lgkmcnt(0)
	ds_read_b64 v[251:252], v253 offset:11376
                                        ; implicit-def: $vgpr249
	ds_read2_b64 v[104:107], v97 offset0:46 offset1:136
	ds_read2_b64 v[134:137], v96 offset0:96 offset1:159
	;; [unrolled: 1-line block ×5, first 2 shown]
	ds_read2_b64 v[154:157], v253 offset1:63
	ds_read2_b64 v[150:153], v253 offset0:126 offset1:216
	ds_read2_b64 v[138:141], v255 offset0:176 offset1:239
	;; [unrolled: 1-line block ×4, first 2 shown]
	v_cmp_gt_u16_e64 s[0:1], 27, v254
                                        ; implicit-def: $vgpr164
                                        ; implicit-def: $vgpr160
	s_and_saveexec_b64 s[4:5], s[0:1]
	s_cbranch_execz .LBB0_3
; %bb.2:
	v_add_u32_e32 v114, 0x1300, v253
	v_add_u32_e32 v113, 0x500, v253
	ds_read2_b64 v[162:165], v114 offset0:13 offset1:229
	ds_read2_b64 v[158:161], v108 offset0:29 offset1:245
	ds_read_b64 v[249:250], v253 offset:11880
	ds_read2_b64 v[144:147], v113 offset0:29 offset1:245
	s_waitcnt lgkmcnt(3)
	v_mov_b32_e32 v148, v162
	v_mov_b32_e32 v149, v163
.LBB0_3:
	s_or_b64 exec, exec, s[4:5]
	v_lshlrev_b32_e32 v108, 3, v111
	buffer_store_dword v108, off, s[20:23], 0 offset:412 ; 4-byte Folded Spill
	v_lshlrev_b32_e32 v108, 4, v110
	v_mad_u64_u32 v[142:143], s[4:5], v254, 48, s[14:15]
	buffer_store_dword v108, off, s[20:23], 0 offset:408 ; 4-byte Folded Spill
	v_lshlrev_b32_e32 v108, 4, v112
	buffer_store_dword v108, off, s[20:23], 0 offset:404 ; 4-byte Folded Spill
	v_lshlrev_b32_e32 v108, 4, v109
	buffer_store_dword v108, off, s[20:23], 0 offset:400 ; 4-byte Folded Spill
	global_load_dwordx4 v[108:111], v[142:143], off offset:1744
	s_nop 0
	global_load_dwordx4 v[112:115], v[142:143], off offset:1728
	global_load_dwordx4 v[116:119], v[142:143], off offset:1712
	s_movk_i32 s4, 0x1280
	s_mov_b32 s5, 0xbf3bfb3b
	s_mov_b32 s7, 0xbeae86e6
	s_waitcnt vmcnt(2) lgkmcnt(7)
	v_mul_f32_e32 v179, v98, v109
	s_waitcnt vmcnt(1)
	v_mul_f32_e32 v175, v106, v113
	s_waitcnt vmcnt(0) lgkmcnt(3)
	v_mul_f32_e32 v120, v153, v117
	v_fma_f32 v162, v152, v116, -v120
	v_mul_f32_e32 v152, v152, v117
	s_waitcnt lgkmcnt(2)
	v_mul_f32_e32 v120, v139, v119
	v_fmac_f32_e32 v152, v153, v116
	v_fma_f32 v153, v138, v118, -v120
	v_mul_f32_e32 v120, v107, v113
	v_fma_f32 v174, v106, v112, -v120
	v_mul_f32_e32 v106, v135, v115
	;; [unrolled: 2-line block ×4, first 2 shown]
	v_fma_f32 v180, v130, v110, -v98
	v_add_co_u32_e32 v98, vcc, s4, v142
	v_fmac_f32_e32 v179, v99, v108
	v_addc_co_u32_e32 v99, vcc, 0, v143, vcc
	v_add_co_u32_e32 v106, vcc, s6, v142
	v_fmac_f32_e32 v175, v107, v112
	v_mul_f32_e32 v181, v130, v111
	v_addc_co_u32_e32 v107, vcc, 0, v143, vcc
	v_fmac_f32_e32 v181, v131, v110
	global_load_dwordx4 v[124:127], v[106:107], off offset:640
	global_load_dwordx4 v[120:123], v[98:99], off offset:32
	;; [unrolled: 1-line block ×3, first 2 shown]
	s_movk_i32 s4, 0x1e50
	v_mul_f32_e32 v163, v138, v119
	v_mul_f32_e32 v177, v134, v115
	v_fmac_f32_e32 v163, v139, v118
	v_fmac_f32_e32 v177, v135, v114
	s_mov_b32 s6, 0x3f3bfb3b
	s_waitcnt vmcnt(2) lgkmcnt(1)
	v_mul_f32_e32 v98, v171, v125
	v_fma_f32 v182, v170, v124, -v98
	v_mul_f32_e32 v170, v170, v125
	v_mul_f32_e32 v98, v141, v127
	v_fmac_f32_e32 v170, v171, v124
	v_fma_f32 v171, v140, v126, -v98
	s_waitcnt vmcnt(0)
	v_mul_f32_e32 v98, v167, v129
	v_fma_f32 v184, v166, v128, -v98
	v_mul_f32_e32 v166, v166, v129
	v_mul_f32_e32 v98, v137, v131
	v_fmac_f32_e32 v166, v167, v128
	v_fma_f32 v167, v136, v130, -v98
	s_waitcnt lgkmcnt(0)
	v_mul_f32_e32 v98, v101, v121
	v_fma_f32 v186, v100, v120, -v98
	v_mul_f32_e32 v98, v133, v123
	v_mul_f32_e32 v183, v140, v127
	;; [unrolled: 1-line block ×3, first 2 shown]
	v_fma_f32 v189, v132, v122, -v98
	v_mul_f32_e32 v190, v132, v123
	v_add_co_u32_e32 v98, vcc, s4, v142
	v_fmac_f32_e32 v183, v141, v126
	v_fmac_f32_e32 v185, v137, v130
	;; [unrolled: 1-line block ×3, first 2 shown]
	v_addc_co_u32_e32 v99, vcc, 0, v143, vcc
	global_load_dwordx4 v[136:139], v[106:107], off offset:3664
	global_load_dwordx4 v[132:135], v[98:99], off offset:32
	;; [unrolled: 1-line block ×3, first 2 shown]
	v_mul_f32_e32 v187, v100, v121
	v_fmac_f32_e32 v187, v101, v120
	s_mov_b32 s4, 0x3f5ff5aa
	s_waitcnt vmcnt(2)
	v_mul_f32_e32 v98, v173, v137
	v_fma_f32 v191, v172, v136, -v98
	v_mul_f32_e32 v172, v172, v137
	v_mul_f32_e32 v98, v105, v139
	v_fmac_f32_e32 v172, v173, v136
	v_fma_f32 v173, v104, v138, -v98
	s_waitcnt vmcnt(0)
	v_mul_f32_e32 v98, v169, v141
	v_fma_f32 v193, v168, v140, -v98
	v_mul_f32_e32 v168, v168, v141
	v_mul_f32_e32 v98, v97, v143
	v_fmac_f32_e32 v168, v169, v140
	v_fma_f32 v169, v96, v142, -v98
	v_mul_f32_e32 v194, v96, v143
	v_mul_f32_e32 v96, v103, v133
	v_fma_f32 v195, v102, v132, -v96
	v_mul_f32_e32 v96, v252, v135
	v_fma_f32 v197, v251, v134, -v96
	v_subrev_u32_e32 v96, 27, v254
	v_cndmask_b32_e64 v96, v96, v188, s[0:1]
	v_fmac_f32_e32 v194, v97, v142
	v_mul_hi_i32_i24_e32 v97, 48, v96
	v_mul_i32_i24_e32 v96, 48, v96
	v_mul_f32_e32 v192, v104, v139
	v_add_co_u32_e32 v104, vcc, s14, v96
	v_mov_b32_e32 v96, s15
	v_fmac_f32_e32 v192, v105, v138
	v_mul_f32_e32 v196, v102, v133
	v_addc_co_u32_e32 v105, vcc, v96, v97, vcc
	v_fmac_f32_e32 v196, v103, v132
	global_load_dwordx4 v[96:99], v[104:105], off offset:1744
	global_load_dwordx4 v[100:103], v[104:105], off offset:1728
	s_nop 0
	global_load_dwordx4 v[104:107], v[104:105], off offset:1712
	v_mul_f32_e32 v198, v251, v135
	v_fmac_f32_e32 v198, v252, v134
	s_waitcnt vmcnt(2)
	v_mul_f32_e32 v208, v249, v99
	s_waitcnt vmcnt(1)
	v_mul_f32_e32 v206, v164, v101
	;; [unrolled: 2-line block ×3, first 2 shown]
	v_fma_f32 v205, v146, v104, -v188
	v_mul_f32_e32 v146, v146, v105
	v_fmac_f32_e32 v146, v147, v104
	v_mul_f32_e32 v147, v149, v107
	v_fma_f32 v147, v148, v106, -v147
	v_mul_f32_e32 v148, v148, v107
	v_fmac_f32_e32 v148, v149, v106
	v_mul_f32_e32 v149, v165, v101
	v_fma_f32 v149, v164, v100, -v149
	v_mul_f32_e32 v164, v159, v103
	v_fma_f32 v207, v158, v102, -v164
	v_add_f32_e32 v164, v162, v180
	v_sub_f32_e32 v162, v162, v180
	v_add_f32_e32 v180, v153, v178
	v_fmac_f32_e32 v206, v165, v100
	v_add_f32_e32 v165, v152, v181
	v_sub_f32_e32 v152, v152, v181
	v_add_f32_e32 v181, v163, v179
	v_sub_f32_e32 v153, v153, v178
	;; [unrolled: 2-line block ×5, first 2 shown]
	v_add_f32_e32 v177, v181, v165
	v_add_f32_e32 v200, v174, v153
	;; [unrolled: 1-line block ×3, first 2 shown]
	v_sub_f32_e32 v188, v180, v164
	v_sub_f32_e32 v164, v164, v178
	;; [unrolled: 1-line block ×3, first 2 shown]
	v_add_f32_e32 v201, v175, v163
	v_sub_f32_e32 v202, v174, v153
	v_sub_f32_e32 v203, v175, v163
	;; [unrolled: 1-line block ×4, first 2 shown]
	v_add_f32_e32 v177, v179, v177
	v_add_f32_e32 v178, v200, v162
	;; [unrolled: 1-line block ×3, first 2 shown]
	v_sub_f32_e32 v199, v181, v165
	v_sub_f32_e32 v165, v165, v179
	;; [unrolled: 1-line block ×5, first 2 shown]
	v_add_f32_e32 v152, v201, v152
	v_add_f32_e32 v163, v155, v177
	v_mul_f32_e32 v201, 0xbf08b237, v203
	v_mov_b32_e32 v203, v162
	v_mul_f32_e32 v154, 0x3f4a47b2, v164
	v_mul_f32_e32 v155, 0x3f4a47b2, v165
	;; [unrolled: 1-line block ×5, first 2 shown]
	v_fmac_f32_e32 v203, 0xbf955555, v176
	v_mov_b32_e32 v176, v163
	v_mul_f32_e32 v179, 0x3f5ff5aa, v153
	v_mul_f32_e32 v202, 0x3f5ff5aa, v204
	v_fmac_f32_e32 v176, 0xbf955555, v177
	v_fma_f32 v164, v188, s6, -v164
	v_fma_f32 v165, v199, s6, -v165
	;; [unrolled: 1-line block ×3, first 2 shown]
	v_fmac_f32_e32 v154, 0x3d64c772, v180
	v_fma_f32 v180, v199, s5, -v155
	v_fmac_f32_e32 v155, 0x3d64c772, v181
	v_fma_f32 v153, v153, s4, -v200
	v_fmac_f32_e32 v200, 0x3eae86e6, v174
	v_fma_f32 v181, v204, s4, -v201
	v_fmac_f32_e32 v201, 0x3eae86e6, v175
	v_fma_f32 v188, v174, s7, -v179
	v_fma_f32 v199, v175, s7, -v202
	v_add_f32_e32 v155, v155, v176
	v_add_f32_e32 v179, v164, v203
	;; [unrolled: 1-line block ×3, first 2 shown]
	v_fmac_f32_e32 v200, 0x3ee1c552, v178
	v_fmac_f32_e32 v153, 0x3ee1c552, v178
	;; [unrolled: 1-line block ×3, first 2 shown]
	v_add_f32_e32 v154, v154, v203
	v_add_f32_e32 v203, v177, v203
	;; [unrolled: 1-line block ×3, first 2 shown]
	v_fmac_f32_e32 v201, 0x3ee1c552, v152
	v_fmac_f32_e32 v188, 0x3ee1c552, v178
	;; [unrolled: 1-line block ×3, first 2 shown]
	v_sub_f32_e32 v165, v155, v200
	v_sub_f32_e32 v176, v179, v181
	v_add_f32_e32 v177, v153, v202
	v_add_f32_e32 v178, v181, v179
	v_sub_f32_e32 v179, v202, v153
	v_add_f32_e32 v200, v200, v155
	v_add_f32_e32 v152, v182, v189
	;; [unrolled: 1-line block ×3, first 2 shown]
	v_sub_f32_e32 v155, v170, v190
	v_add_f32_e32 v170, v171, v186
	v_add_f32_e32 v164, v201, v154
	;; [unrolled: 1-line block ×3, first 2 shown]
	v_sub_f32_e32 v180, v203, v199
	v_sub_f32_e32 v199, v154, v201
	;; [unrolled: 1-line block ×3, first 2 shown]
	v_add_f32_e32 v182, v183, v187
	v_sub_f32_e32 v171, v171, v186
	v_add_f32_e32 v186, v184, v167
	v_sub_f32_e32 v167, v167, v184
	;; [unrolled: 2-line block ×4, first 2 shown]
	v_add_f32_e32 v185, v182, v153
	v_add_f32_e32 v184, v186, v184
	;; [unrolled: 1-line block ×4, first 2 shown]
	v_sub_f32_e32 v202, v167, v171
	v_sub_f32_e32 v203, v166, v183
	;; [unrolled: 1-line block ×3, first 2 shown]
	v_add_f32_e32 v185, v187, v185
	v_add_f32_e32 v166, v156, v184
	v_sub_f32_e32 v175, v204, v188
	v_add_f32_e32 v181, v188, v204
	v_sub_f32_e32 v188, v170, v152
	v_sub_f32_e32 v189, v182, v153
	;; [unrolled: 1-line block ×8, first 2 shown]
	v_add_f32_e32 v154, v190, v154
	v_add_f32_e32 v167, v157, v185
	v_mul_f32_e32 v190, 0xbf08b237, v202
	v_mov_b32_e32 v202, v166
	v_sub_f32_e32 v183, v183, v155
	v_add_f32_e32 v155, v201, v155
	v_mul_f32_e32 v152, 0x3f4a47b2, v152
	v_mul_f32_e32 v153, 0x3f4a47b2, v153
	;; [unrolled: 1-line block ×5, first 2 shown]
	v_fmac_f32_e32 v202, 0xbf955555, v184
	v_mov_b32_e32 v184, v167
	v_mul_f32_e32 v186, 0x3f5ff5aa, v171
	v_mul_f32_e32 v187, 0x3f5ff5aa, v183
	v_fmac_f32_e32 v184, 0xbf955555, v185
	v_fma_f32 v156, v188, s6, -v156
	v_fma_f32 v157, v189, s6, -v157
	;; [unrolled: 1-line block ×3, first 2 shown]
	v_fmac_f32_e32 v152, 0x3d64c772, v170
	v_fma_f32 v170, v189, s5, -v153
	v_fma_f32 v189, v183, s4, -v201
	v_fmac_f32_e32 v201, 0x3eae86e6, v209
	v_fmac_f32_e32 v153, 0x3d64c772, v182
	v_fma_f32 v188, v171, s4, -v190
	v_fmac_f32_e32 v190, 0x3eae86e6, v204
	v_fma_f32 v203, v204, s7, -v186
	v_fma_f32 v204, v209, s7, -v187
	v_add_f32_e32 v152, v152, v202
	v_add_f32_e32 v156, v156, v202
	v_fmac_f32_e32 v201, 0x3ee1c552, v155
	v_fmac_f32_e32 v189, 0x3ee1c552, v155
	v_add_f32_e32 v153, v153, v184
	v_add_f32_e32 v157, v157, v184
	;; [unrolled: 1-line block ×4, first 2 shown]
	v_fmac_f32_e32 v190, 0x3ee1c552, v154
	v_fmac_f32_e32 v188, 0x3ee1c552, v154
	;; [unrolled: 1-line block ×3, first 2 shown]
	v_add_f32_e32 v170, v201, v152
	v_sub_f32_e32 v184, v156, v189
	v_add_f32_e32 v186, v189, v156
	v_sub_f32_e32 v201, v152, v201
	v_add_f32_e32 v152, v191, v197
	v_add_f32_e32 v156, v173, v195
	v_sub_f32_e32 v171, v153, v190
	v_add_f32_e32 v182, v204, v202
	v_add_f32_e32 v185, v188, v157
	v_sub_f32_e32 v187, v157, v188
	v_sub_f32_e32 v188, v202, v204
	v_add_f32_e32 v202, v190, v153
	v_add_f32_e32 v153, v172, v198
	v_sub_f32_e32 v155, v172, v198
	v_add_f32_e32 v157, v192, v196
	v_sub_f32_e32 v172, v173, v195
	v_sub_f32_e32 v173, v192, v196
	v_add_f32_e32 v190, v193, v169
	v_add_f32_e32 v192, v156, v152
	v_fmac_f32_e32 v203, 0x3ee1c552, v154
	v_sub_f32_e32 v154, v191, v197
	v_add_f32_e32 v191, v168, v194
	v_sub_f32_e32 v169, v169, v193
	v_sub_f32_e32 v168, v194, v168
	v_add_f32_e32 v193, v157, v153
	v_sub_f32_e32 v194, v156, v152
	v_sub_f32_e32 v152, v152, v190
	;; [unrolled: 1-line block ×3, first 2 shown]
	v_add_f32_e32 v190, v190, v192
	v_mul_f32_e32 v158, v158, v103
	v_sub_f32_e32 v183, v209, v203
	v_add_f32_e32 v189, v203, v209
	v_sub_f32_e32 v195, v157, v153
	v_sub_f32_e32 v153, v153, v191
	;; [unrolled: 1-line block ×3, first 2 shown]
	v_add_f32_e32 v196, v169, v172
	v_add_f32_e32 v197, v168, v173
	v_sub_f32_e32 v203, v168, v173
	v_sub_f32_e32 v209, v155, v168
	v_add_f32_e32 v191, v191, v193
	v_add_f32_e32 v168, v150, v190
	v_fmac_f32_e32 v158, v159, v102
	v_mul_f32_e32 v159, v161, v97
	v_sub_f32_e32 v198, v169, v172
	v_sub_f32_e32 v204, v154, v169
	;; [unrolled: 1-line block ×4, first 2 shown]
	v_add_f32_e32 v154, v196, v154
	v_add_f32_e32 v169, v151, v191
	v_mov_b32_e32 v196, v168
	v_fma_f32 v159, v160, v96, -v159
	v_mul_f32_e32 v160, v160, v97
	v_mul_f32_e32 v150, 0x3f4a47b2, v152
	;; [unrolled: 1-line block ×9, first 2 shown]
	v_fmac_f32_e32 v196, 0xbf955555, v190
	v_mov_b32_e32 v190, v169
	v_fmac_f32_e32 v160, v161, v96
	v_mul_f32_e32 v161, v250, v99
	v_add_f32_e32 v155, v197, v155
	v_fmac_f32_e32 v190, 0xbf955555, v191
	v_fma_f32 v152, v194, s6, -v152
	v_fma_f32 v153, v195, s6, -v153
	;; [unrolled: 1-line block ×3, first 2 shown]
	v_fmac_f32_e32 v150, 0x3d64c772, v156
	v_fma_f32 v156, v195, s5, -v151
	v_fmac_f32_e32 v151, 0x3d64c772, v157
	v_fma_f32 v157, v172, s4, -v198
	;; [unrolled: 2-line block ×4, first 2 shown]
	v_fma_f32 v204, v209, s7, -v193
	v_fma_f32 v161, v249, v98, -v161
	v_fmac_f32_e32 v208, v250, v98
	v_add_f32_e32 v150, v150, v196
	v_add_f32_e32 v151, v151, v190
	;; [unrolled: 1-line block ×5, first 2 shown]
	v_fmac_f32_e32 v198, 0x3ee1c552, v154
	v_fmac_f32_e32 v203, 0x3ee1c552, v155
	;; [unrolled: 1-line block ×4, first 2 shown]
	v_add_f32_e32 v156, v156, v190
	v_fmac_f32_e32 v197, 0x3ee1c552, v154
	v_add_f32_e32 v172, v203, v150
	v_sub_f32_e32 v173, v151, v198
	v_add_f32_e32 v190, v204, v196
	v_add_f32_e32 v193, v157, v153
	v_sub_f32_e32 v195, v153, v157
	v_sub_f32_e32 v196, v196, v204
	;; [unrolled: 1-line block ×3, first 2 shown]
	v_add_f32_e32 v204, v198, v151
	v_add_f32_e32 v150, v205, v161
	;; [unrolled: 1-line block ×5, first 2 shown]
	v_fmac_f32_e32 v194, 0x3ee1c552, v155
	v_sub_f32_e32 v191, v156, v197
	v_add_f32_e32 v197, v197, v156
	v_sub_f32_e32 v146, v146, v208
	v_sub_f32_e32 v147, v147, v159
	v_sub_f32_e32 v148, v148, v160
	v_add_f32_e32 v155, v149, v207
	v_add_f32_e32 v156, v206, v158
	v_sub_f32_e32 v157, v158, v206
	v_add_f32_e32 v158, v153, v150
	v_add_f32_e32 v159, v154, v151
	v_sub_f32_e32 v192, v152, v194
	v_add_f32_e32 v194, v194, v152
	v_sub_f32_e32 v152, v205, v161
	v_sub_f32_e32 v149, v207, v149
	v_sub_f32_e32 v161, v154, v151
	v_sub_f32_e32 v151, v151, v156
	v_sub_f32_e32 v198, v156, v154
	v_add_f32_e32 v205, v157, v148
	v_sub_f32_e32 v207, v157, v148
	v_sub_f32_e32 v208, v146, v157
	v_add_f32_e32 v157, v155, v158
	v_add_f32_e32 v156, v156, v159
	v_sub_f32_e32 v160, v153, v150
	v_sub_f32_e32 v150, v150, v155
	;; [unrolled: 1-line block ×3, first 2 shown]
	v_add_f32_e32 v154, v149, v147
	v_sub_f32_e32 v206, v149, v147
	v_sub_f32_e32 v147, v147, v152
	;; [unrolled: 1-line block ×3, first 2 shown]
	v_add_f32_e32 v144, v144, v157
	v_add_f32_e32 v145, v145, v156
	v_sub_f32_e32 v149, v152, v149
	v_add_f32_e32 v152, v154, v152
	v_add_f32_e32 v146, v205, v146
	v_mul_f32_e32 v150, 0x3f4a47b2, v150
	v_mul_f32_e32 v151, 0x3f4a47b2, v151
	;; [unrolled: 1-line block ×8, first 2 shown]
	v_mov_b32_e32 v207, v144
	v_mov_b32_e32 v209, v145
	v_fmac_f32_e32 v207, 0xbf955555, v157
	v_fmac_f32_e32 v209, 0xbf955555, v156
	v_fma_f32 v210, v160, s6, -v158
	v_fma_f32 v249, v161, s6, -v159
	;; [unrolled: 1-line block ×3, first 2 shown]
	v_fmac_f32_e32 v150, 0x3d64c772, v153
	v_fma_f32 v153, v161, s5, -v151
	v_fmac_f32_e32 v151, 0x3d64c772, v198
	v_fma_f32 v198, v147, s4, -v154
	v_fmac_f32_e32 v154, 0x3eae86e6, v149
	v_fma_f32 v148, v148, s4, -v155
	v_fmac_f32_e32 v155, 0x3eae86e6, v208
	v_fma_f32 v157, v149, s7, -v205
	v_fma_f32 v158, v208, s7, -v206
	v_add_f32_e32 v156, v150, v207
	v_add_f32_e32 v159, v151, v209
	;; [unrolled: 1-line block ×6, first 2 shown]
	v_fmac_f32_e32 v154, 0x3ee1c552, v152
	v_fmac_f32_e32 v155, 0x3ee1c552, v146
	;; [unrolled: 1-line block ×6, first 2 shown]
	v_sub_f32_e32 v146, v149, v148
	v_add_f32_e32 v147, v198, v150
	v_add_f32_e32 v148, v148, v149
	v_sub_f32_e32 v149, v150, v198
	v_sub_f32_e32 v150, v160, v158
	v_add_f32_e32 v151, v157, v161
	v_sub_f32_e32 v152, v156, v155
	v_add_f32_e32 v153, v154, v159
	ds_write_b64 v253, v[164:165] offset:1728
	ds_write_b64 v253, v[174:175] offset:3456
	;; [unrolled: 1-line block ×6, first 2 shown]
	ds_write2_b64 v253, v[162:163], v[166:167] offset1:63
	ds_write_b64 v253, v[182:183] offset:3960
	ds_write_b64 v253, v[184:185] offset:5688
	;; [unrolled: 1-line block ×6, first 2 shown]
	ds_write2_b64 v255, v[170:171], v[172:173] offset0:23 offset1:86
	ds_write_b64 v253, v[190:191] offset:4464
	ds_write_b64 v253, v[192:193] offset:6192
	;; [unrolled: 1-line block ×5, first 2 shown]
	s_and_saveexec_b64 s[4:5], s[0:1]
	s_cbranch_execz .LBB0_5
; %bb.4:
	v_sub_f32_e32 v161, v161, v157
	v_sub_f32_e32 v157, v159, v154
	v_add_f32_e32 v156, v155, v156
	v_add_u32_e32 v154, 0x500, v253
	v_add_f32_e32 v160, v158, v160
	ds_write2_b64 v154, v[144:145], v[156:157] offset0:29 offset1:245
	v_add_u32_e32 v144, 0x1300, v253
	ds_write2_b64 v144, v[160:161], v[146:147] offset0:13 offset1:229
	v_add_u32_e32 v144, 0x2000, v253
	ds_write2_b64 v144, v[148:149], v[150:151] offset0:29 offset1:245
	ds_write_b64 v253, v[152:153] offset:11880
.LBB0_5:
	s_or_b64 exec, exec, s[4:5]
	v_lshlrev_b32_e32 v144, 3, v254
	v_add_co_u32_e32 v154, vcc, s12, v144
	v_mov_b32_e32 v144, s13
	v_addc_co_u32_e32 v155, vcc, 0, v144, vcc
	v_add_co_u32_e32 v158, vcc, 0x2f40, v154
	v_addc_co_u32_e32 v159, vcc, 0, v155, vcc
	v_add_co_u32_e32 v144, vcc, 0x2000, v154
	s_waitcnt lgkmcnt(0)
	; wave barrier
	s_waitcnt lgkmcnt(0)
	v_addc_co_u32_e32 v145, vcc, 0, v155, vcc
	global_load_dwordx2 v[162:163], v[158:159], off offset:504
	global_load_dwordx2 v[160:161], v[144:145], off offset:3904
	v_add_co_u32_e32 v164, vcc, 0x4000, v154
	v_addc_co_u32_e32 v165, vcc, 0, v155, vcc
	global_load_dwordx2 v[166:167], v[164:165], off offset:1760
	global_load_dwordx2 v[168:169], v[164:165], off offset:2264
	;; [unrolled: 1-line block ×9, first 2 shown]
	s_movk_i32 s4, 0x5000
	v_add_co_u32_e32 v184, vcc, s4, v154
	v_addc_co_u32_e32 v185, vcc, 0, v155, vcc
	global_load_dwordx2 v[186:187], v[184:185], off offset:184
	global_load_dwordx2 v[188:189], v[158:159], off offset:3024
	ds_read2_b64 v[154:157], v253 offset1:63
	global_load_dwordx2 v[190:191], v[184:185], off offset:688
	global_load_dwordx2 v[192:193], v[184:185], off offset:1192
	;; [unrolled: 1-line block ×7, first 2 shown]
	v_add_u32_e32 v144, 0x1400, v253
	v_add_u32_e32 v145, 0x1800, v253
	global_load_dwordx2 v[208:209], v[164:165], off offset:1256
	s_waitcnt vmcnt(20) lgkmcnt(0)
	v_mul_f32_e32 v204, v157, v163
	s_waitcnt vmcnt(19)
	v_mul_f32_e32 v158, v155, v161
	v_mul_f32_e32 v159, v154, v161
	v_fma_f32 v158, v154, v160, -v158
	v_fmac_f32_e32 v159, v155, v160
	ds_write_b64 v253, v[158:159]
	ds_read2_b64 v[158:161], v144 offset0:116 offset1:179
	v_mul_f32_e32 v205, v156, v163
	v_fma_f32 v204, v156, v162, -v204
	v_fmac_f32_e32 v205, v157, v162
	ds_read2_b64 v[154:157], v253 offset0:126 offset1:189
	s_waitcnt vmcnt(18) lgkmcnt(1)
	v_mul_f32_e32 v162, v159, v167
	v_fma_f32 v206, v158, v166, -v162
	v_mul_f32_e32 v207, v158, v167
	s_waitcnt vmcnt(17)
	v_mul_f32_e32 v158, v161, v169
	v_mul_f32_e32 v167, v160, v169
	v_fmac_f32_e32 v207, v159, v166
	v_fma_f32 v166, v160, v168, -v158
	v_fmac_f32_e32 v167, v161, v168
	ds_read2_b64 v[160:163], v145 offset0:114 offset1:177
	s_waitcnt vmcnt(16) lgkmcnt(1)
	v_mul_f32_e32 v158, v155, v171
	v_fma_f32 v168, v154, v170, -v158
	v_mul_f32_e32 v169, v154, v171
	s_waitcnt vmcnt(15)
	v_mul_f32_e32 v154, v157, v173
	v_fmac_f32_e32 v169, v155, v170
	v_fma_f32 v170, v156, v172, -v154
	v_mul_f32_e32 v171, v156, v173
	s_waitcnt vmcnt(14) lgkmcnt(0)
	v_mul_f32_e32 v154, v161, v175
	v_fmac_f32_e32 v171, v157, v172
	global_load_dwordx2 v[172:173], v[164:165], off offset:752
	v_mul_f32_e32 v157, v160, v175
	v_fma_f32 v156, v160, v174, -v154
	s_waitcnt vmcnt(14)
	v_mul_f32_e32 v154, v163, v177
	v_mul_f32_e32 v175, v162, v177
	v_fmac_f32_e32 v157, v161, v174
	v_fma_f32 v174, v162, v176, -v154
	v_fmac_f32_e32 v175, v163, v176
	global_load_dwordx2 v[176:177], v[184:185], off offset:2704
	v_add_u32_e32 v159, 0x400, v253
	global_load_dwordx2 v[184:185], v[184:185], off offset:3208
	ds_read2_b64 v[160:163], v159 offset0:124 offset1:187
	v_add_u32_e32 v155, 0x1c00, v253
	ds_write2_b64 v145, v[166:167], v[156:157] offset0:51 offset1:114
	ds_read2_b64 v[164:167], v155 offset0:112 offset1:175
	ds_write2_b64 v253, v[204:205], v[168:169] offset0:63 offset1:126
	s_waitcnt vmcnt(15) lgkmcnt(3)
	v_mul_f32_e32 v154, v161, v179
	v_fma_f32 v168, v160, v178, -v154
	v_mul_f32_e32 v169, v160, v179
	s_waitcnt vmcnt(14) lgkmcnt(1)
	v_mul_f32_e32 v154, v165, v181
	v_mul_f32_e32 v157, v164, v181
	v_fma_f32 v156, v164, v180, -v154
	v_fmac_f32_e32 v157, v165, v180
	s_waitcnt vmcnt(13)
	v_mul_f32_e32 v154, v163, v183
	ds_write2_b64 v145, v[174:175], v[156:157] offset0:177 offset1:240
	v_fma_f32 v157, v162, v182, -v154
	v_mul_f32_e32 v158, v162, v183
	v_add_u32_e32 v154, 0x800, v253
	v_fmac_f32_e32 v169, v161, v178
	v_fmac_f32_e32 v158, v163, v182
	ds_read2_b64 v[160:163], v154 offset0:122 offset1:185
	s_waitcnt vmcnt(12)
	v_mul_f32_e32 v156, v167, v187
	ds_write2_b64 v253, v[170:171], v[168:169] offset0:189 offset1:252
	v_fma_f32 v168, v166, v186, -v156
	v_mul_f32_e32 v169, v166, v187
	v_add_u32_e32 v156, 0x2000, v253
	v_fmac_f32_e32 v169, v167, v186
	ds_read2_b64 v[164:167], v156 offset0:110 offset1:173
	s_waitcnt vmcnt(11) lgkmcnt(2)
	v_mul_f32_e32 v170, v161, v189
	v_mul_f32_e32 v171, v160, v189
	v_fma_f32 v170, v160, v188, -v170
	v_fmac_f32_e32 v171, v161, v188
	ds_write2_b64 v154, v[157:158], v[170:171] offset0:59 offset1:122
	s_waitcnt vmcnt(10) lgkmcnt(1)
	v_mul_f32_e32 v157, v165, v191
	v_mul_f32_e32 v158, v164, v191
	v_fma_f32 v157, v164, v190, -v157
	v_fmac_f32_e32 v158, v165, v190
	ds_write2_b64 v156, v[168:169], v[157:158] offset0:47 offset1:110
	s_waitcnt vmcnt(6)
	v_mul_f32_e32 v157, v163, v199
	v_mul_f32_e32 v158, v162, v199
	v_add_u32_e32 v161, 0xc00, v253
	v_fma_f32 v157, v162, v198, -v157
	v_fmac_f32_e32 v158, v163, v198
	ds_read2_b64 v[162:165], v161 offset0:120 offset1:183
	v_mul_f32_e32 v160, v167, v193
	v_fma_f32 v170, v166, v192, -v160
	v_mul_f32_e32 v171, v166, v193
	v_add_u32_e32 v160, 0x2400, v253
	v_fmac_f32_e32 v171, v167, v192
	ds_read2_b64 v[166:169], v160 offset0:108 offset1:171
	s_waitcnt vmcnt(5) lgkmcnt(1)
	v_mul_f32_e32 v174, v163, v201
	v_mul_f32_e32 v175, v162, v201
	v_fma_f32 v174, v162, v200, -v174
	v_fmac_f32_e32 v175, v163, v200
	ds_write2_b64 v154, v[157:158], v[174:175] offset0:185 offset1:248
	s_waitcnt lgkmcnt(1)
	v_mul_f32_e32 v157, v167, v195
	v_mul_f32_e32 v158, v166, v195
	v_fma_f32 v157, v166, v194, -v157
	v_fmac_f32_e32 v158, v167, v194
	ds_write2_b64 v156, v[170:171], v[157:158] offset0:173 offset1:236
	s_waitcnt vmcnt(4)
	v_mul_f32_e32 v157, v165, v203
	v_fma_f32 v170, v164, v202, -v157
	v_mul_f32_e32 v171, v164, v203
	v_add_u32_e32 v158, 0x1000, v253
	v_mul_f32_e32 v157, v169, v197
	v_fmac_f32_e32 v171, v165, v202
	ds_read2_b64 v[162:165], v158 offset0:118 offset1:181
	v_fma_f32 v174, v168, v196, -v157
	v_mul_f32_e32 v175, v168, v197
	v_add_u32_e32 v157, 0x2800, v253
	v_fmac_f32_e32 v175, v169, v196
	ds_read2_b64 v[166:169], v157 offset0:106 offset1:169
	s_waitcnt vmcnt(2) lgkmcnt(1)
	v_mul_f32_e32 v178, v163, v173
	v_mul_f32_e32 v179, v162, v173
	v_fma_f32 v178, v162, v172, -v178
	v_fmac_f32_e32 v179, v163, v172
	ds_write2_b64 v158, v[170:171], v[178:179] offset0:55 offset1:118
	s_waitcnt vmcnt(1) lgkmcnt(1)
	v_mul_f32_e32 v162, v167, v177
	v_mul_f32_e32 v163, v166, v177
	v_fma_f32 v162, v166, v176, -v162
	v_fmac_f32_e32 v163, v167, v176
	ds_write2_b64 v157, v[174:175], v[162:163] offset0:43 offset1:106
	v_mul_f32_e32 v162, v165, v209
	v_mul_f32_e32 v163, v164, v209
	v_fma_f32 v162, v164, v208, -v162
	v_fmac_f32_e32 v163, v165, v208
	ds_write2_b64 v158, v[162:163], v[206:207] offset0:181 offset1:244
	s_waitcnt vmcnt(0)
	v_mul_f32_e32 v162, v169, v185
	v_mul_f32_e32 v163, v168, v185
	v_fma_f32 v162, v168, v184, -v162
	v_fmac_f32_e32 v163, v169, v184
	ds_write_b64 v253, v[162:163] offset:11592
	s_waitcnt lgkmcnt(0)
	; wave barrier
	s_waitcnt lgkmcnt(0)
	ds_read2_b64 v[162:165], v253 offset1:63
	ds_read2_b64 v[166:169], v144 offset0:116 offset1:179
	ds_read2_b64 v[170:173], v253 offset0:126 offset1:189
	;; [unrolled: 1-line block ×9, first 2 shown]
	s_waitcnt lgkmcnt(8)
	v_sub_f32_e32 v200, v162, v166
	v_sub_f32_e32 v201, v163, v167
	v_fma_f32 v198, v162, 2.0, -v200
	v_fma_f32 v199, v163, 2.0, -v201
	v_lshlrev_b32_e32 v162, 4, v254
	ds_read2_b64 v[202:205], v158 offset0:118 offset1:181
	ds_read2_b64 v[206:209], v157 offset0:106 offset1:169
	s_waitcnt lgkmcnt(0)
	; wave barrier
	s_waitcnt lgkmcnt(0)
	ds_write_b128 v162, v[198:201]
	buffer_load_dword v162, off, s[20:23], 0 offset:152 ; 4-byte Folded Reload
	v_sub_f32_e32 v166, v164, v168
	v_sub_f32_e32 v167, v165, v169
	v_fma_f32 v164, v164, 2.0, -v166
	v_fma_f32 v165, v165, 2.0, -v167
	v_sub_f32_e32 v200, v170, v174
	v_sub_f32_e32 v201, v171, v175
	v_fma_f32 v198, v170, 2.0, -v200
	v_fma_f32 v199, v171, 2.0, -v201
	;; [unrolled: 4-line block ×11, first 2 shown]
	s_waitcnt vmcnt(0)
	ds_write_b128 v162, v[164:167]
	buffer_load_dword v162, off, s[20:23], 0 offset:156 ; 4-byte Folded Reload
	s_waitcnt vmcnt(0)
	ds_write_b128 v162, v[198:201]
	buffer_load_dword v162, off, s[20:23], 0 offset:160 ; 4-byte Folded Reload
	;; [unrolled: 3-line block ×10, first 2 shown]
	s_waitcnt vmcnt(0)
	ds_write_b128 v162, v[204:207]
	s_waitcnt lgkmcnt(0)
	; wave barrier
	s_waitcnt lgkmcnt(0)
	ds_read2_b64 v[162:165], v253 offset1:63
	ds_read2_b64 v[166:169], v144 offset0:116 offset1:179
	ds_read2_b64 v[170:173], v253 offset0:126 offset1:189
	;; [unrolled: 1-line block ×11, first 2 shown]
	buffer_load_dword v250, off, s[20:23], 0 offset:184 ; 4-byte Folded Reload
	s_waitcnt lgkmcnt(10)
	v_mul_f32_e32 v210, v224, v167
	v_fmac_f32_e32 v210, v223, v166
	v_mul_f32_e32 v166, v224, v166
	v_fma_f32 v167, v223, v167, -v166
	v_mul_f32_e32 v166, v226, v168
	v_mul_f32_e32 v249, v226, v169
	s_waitcnt lgkmcnt(8)
	v_mul_f32_e32 v226, v224, v175
	v_fmac_f32_e32 v226, v223, v174
	v_sub_f32_e32 v167, v163, v167
	v_fma_f32 v163, v163, 2.0, -v167
	s_waitcnt vmcnt(0)
	v_fma_f32 v169, v250, v169, -v166
	v_mul_f32_e32 v166, v224, v174
	v_fma_f32 v175, v223, v175, -v166
	v_mul_f32_e32 v166, v234, v176
	v_fmac_f32_e32 v249, v250, v168
	v_mul_f32_e32 v250, v234, v177
	v_fma_f32 v177, v233, v177, -v166
	s_waitcnt lgkmcnt(6)
	v_mul_f32_e32 v166, v224, v182
	v_fmac_f32_e32 v250, v233, v176
	v_mul_f32_e32 v233, v224, v183
	v_fma_f32 v183, v223, v183, -v166
	v_mul_f32_e32 v166, v232, v184
	v_mul_f32_e32 v234, v232, v185
	v_fma_f32 v185, v231, v185, -v166
	s_waitcnt lgkmcnt(4)
	v_mul_f32_e32 v166, v224, v190
	v_fmac_f32_e32 v234, v231, v184
	v_mul_f32_e32 v231, v224, v191
	v_fma_f32 v191, v223, v191, -v166
	v_mul_f32_e32 v166, v230, v192
	;; [unrolled: 8-line block ×3, first 2 shown]
	v_mul_f32_e32 v230, v228, v201
	v_fma_f32 v201, v227, v201, -v166
	s_waitcnt lgkmcnt(0)
	v_mul_f32_e32 v166, v224, v206
	v_fmac_f32_e32 v230, v227, v200
	v_mul_f32_e32 v227, v224, v207
	v_fma_f32 v207, v223, v207, -v166
	buffer_load_dword v166, off, s[20:23], 0 offset:180 ; 4-byte Folded Reload
	v_fmac_f32_e32 v233, v223, v182
	v_fmac_f32_e32 v231, v223, v190
	;; [unrolled: 1-line block ×4, first 2 shown]
	s_waitcnt lgkmcnt(0)
	; wave barrier
	v_sub_f32_e32 v168, v164, v249
	v_sub_f32_e32 v169, v165, v169
	v_fma_f32 v164, v164, 2.0, -v168
	v_fma_f32 v165, v165, 2.0, -v169
	v_sub_f32_e32 v174, v170, v226
	v_sub_f32_e32 v175, v171, v175
	v_fma_f32 v170, v170, 2.0, -v174
	v_fma_f32 v171, v171, 2.0, -v175
	;; [unrolled: 4-line block ×10, first 2 shown]
	s_waitcnt vmcnt(0)
	v_mul_f32_e32 v223, v166, v209
	v_mul_f32_e32 v166, v166, v208
	v_fma_f32 v209, v225, v209, -v166
	v_sub_f32_e32 v166, v162, v210
	buffer_load_dword v210, off, s[20:23], 0 offset:188 ; 4-byte Folded Reload
	v_fma_f32 v162, v162, 2.0, -v166
	v_fmac_f32_e32 v223, v225, v208
	v_sub_f32_e32 v208, v204, v223
	v_sub_f32_e32 v209, v205, v209
	v_fma_f32 v204, v204, 2.0, -v208
	v_fma_f32 v205, v205, 2.0, -v209
	s_waitcnt vmcnt(0)
	ds_write2_b64 v210, v[162:163], v[166:167] offset1:2
	buffer_load_dword v162, off, s[20:23], 0 offset:192 ; 4-byte Folded Reload
	s_waitcnt vmcnt(0)
	ds_write2_b64 v162, v[164:165], v[168:169] offset1:2
	buffer_load_dword v162, off, s[20:23], 0 offset:196 ; 4-byte Folded Reload
	;; [unrolled: 3-line block ×11, first 2 shown]
	s_waitcnt vmcnt(0)
	ds_write2_b64 v162, v[204:205], v[208:209] offset1:2
	s_waitcnt lgkmcnt(0)
	; wave barrier
	s_waitcnt lgkmcnt(0)
	ds_read2_b64 v[162:165], v253 offset1:63
	ds_read2_b64 v[166:169], v144 offset0:116 offset1:179
	ds_read2_b64 v[170:173], v253 offset0:126 offset1:189
	;; [unrolled: 1-line block ×11, first 2 shown]
	buffer_load_dword v224, off, s[20:23], 0 offset:236 ; 4-byte Folded Reload
	s_waitcnt lgkmcnt(10)
	v_mul_f32_e32 v210, v236, v167
	v_fmac_f32_e32 v210, v235, v166
	v_mul_f32_e32 v166, v236, v166
	v_mul_f32_e32 v223, v238, v169
	v_fma_f32 v167, v235, v167, -v166
	v_mul_f32_e32 v166, v238, v168
	s_waitcnt lgkmcnt(8)
	v_mul_f32_e32 v225, v242, v177
	s_waitcnt lgkmcnt(6)
	v_mul_f32_e32 v226, v236, v183
	v_mul_f32_e32 v227, v244, v185
	s_waitcnt lgkmcnt(4)
	v_mul_f32_e32 v228, v246, v191
	;; [unrolled: 3-line block ×3, first 2 shown]
	v_sub_f32_e32 v167, v163, v167
	v_fma_f32 v163, v163, 2.0, -v167
	v_fmac_f32_e32 v226, v235, v182
	v_fmac_f32_e32 v227, v243, v184
	;; [unrolled: 1-line block ×5, first 2 shown]
	s_waitcnt vmcnt(0)
	v_fmac_f32_e32 v223, v224, v168
	buffer_load_dword v168, off, s[20:23], 0 offset:240 ; 4-byte Folded Reload
	v_fma_f32 v169, v224, v169, -v166
	v_mul_f32_e32 v224, v240, v175
	v_mul_f32_e32 v166, v240, v174
	v_sub_f32_e32 v169, v165, v169
	v_fma_f32 v165, v165, 2.0, -v169
	s_waitcnt vmcnt(0)
	v_fmac_f32_e32 v224, v168, v174
	v_fma_f32 v175, v168, v175, -v166
	buffer_load_dword v168, off, s[20:23], 0 offset:256 ; 4-byte Folded Reload
	v_mul_f32_e32 v166, v242, v176
	v_sub_f32_e32 v174, v170, v224
	v_sub_f32_e32 v175, v171, v175
	v_fma_f32 v170, v170, 2.0, -v174
	v_fma_f32 v171, v171, 2.0, -v175
	s_waitcnt vmcnt(0)
	v_fma_f32 v177, v168, v177, -v166
	v_mul_f32_e32 v166, v236, v182
	v_fma_f32 v183, v235, v183, -v166
	v_mul_f32_e32 v166, v244, v184
	;; [unrolled: 2-line block ×5, first 2 shown]
	v_fma_f32 v199, v235, v199, -v166
	buffer_load_dword v166, off, s[20:23], 0 offset:252 ; 4-byte Folded Reload
	v_fmac_f32_e32 v225, v168, v176
	v_sub_f32_e32 v168, v164, v223
	v_fma_f32 v164, v164, 2.0, -v168
	v_sub_f32_e32 v176, v172, v225
	v_sub_f32_e32 v177, v173, v177
	v_fma_f32 v172, v172, 2.0, -v176
	v_fma_f32 v173, v173, 2.0, -v177
	v_sub_f32_e32 v182, v178, v226
	v_sub_f32_e32 v183, v179, v183
	v_fma_f32 v178, v178, 2.0, -v182
	;; [unrolled: 4-line block ×6, first 2 shown]
	v_fma_f32 v195, v195, 2.0, -v199
	s_waitcnt vmcnt(0)
	v_mul_f32_e32 v231, v166, v201
	v_mul_f32_e32 v166, v166, v200
	v_fma_f32 v201, v237, v201, -v166
	buffer_load_dword v166, off, s[20:23], 0 offset:248 ; 4-byte Folded Reload
	v_fmac_f32_e32 v231, v237, v200
	v_sub_f32_e32 v200, v196, v231
	v_sub_f32_e32 v201, v197, v201
	v_fma_f32 v196, v196, 2.0, -v200
	v_fma_f32 v197, v197, 2.0, -v201
	s_waitcnt vmcnt(0) lgkmcnt(0)
	v_mul_f32_e32 v232, v166, v207
	v_mul_f32_e32 v166, v166, v206
	v_fma_f32 v207, v239, v207, -v166
	buffer_load_dword v166, off, s[20:23], 0 offset:244 ; 4-byte Folded Reload
	s_waitcnt lgkmcnt(0)
	; wave barrier
	v_fmac_f32_e32 v232, v239, v206
	v_sub_f32_e32 v206, v202, v232
	v_sub_f32_e32 v207, v203, v207
	v_fma_f32 v202, v202, 2.0, -v206
	v_fma_f32 v203, v203, 2.0, -v207
	s_waitcnt vmcnt(0)
	v_mul_f32_e32 v233, v166, v209
	v_mul_f32_e32 v166, v166, v208
	v_fma_f32 v209, v241, v209, -v166
	v_sub_f32_e32 v166, v162, v210
	buffer_load_dword v210, off, s[20:23], 0 offset:260 ; 4-byte Folded Reload
	v_fma_f32 v162, v162, 2.0, -v166
	v_fmac_f32_e32 v233, v241, v208
	v_sub_f32_e32 v208, v204, v233
	v_sub_f32_e32 v209, v205, v209
	v_fma_f32 v204, v204, 2.0, -v208
	v_fma_f32 v205, v205, 2.0, -v209
	s_waitcnt vmcnt(0)
	ds_write2_b64 v210, v[162:163], v[166:167] offset1:4
	buffer_load_dword v162, off, s[20:23], 0 offset:264 ; 4-byte Folded Reload
	s_waitcnt vmcnt(0)
	ds_write2_b64 v162, v[164:165], v[168:169] offset1:4
	buffer_load_dword v162, off, s[20:23], 0 offset:268 ; 4-byte Folded Reload
	;; [unrolled: 3-line block ×11, first 2 shown]
	s_waitcnt vmcnt(0)
	ds_write2_b64 v162, v[204:205], v[208:209] offset1:4
	s_waitcnt lgkmcnt(0)
	; wave barrier
	s_waitcnt lgkmcnt(0)
	ds_read2_b64 v[162:165], v253 offset1:63
	ds_read2_b64 v[166:169], v161 offset0:120 offset1:183
	ds_read2_b64 v[170:173], v155 offset0:112 offset1:175
	;; [unrolled: 1-line block ×11, first 2 shown]
	s_waitcnt lgkmcnt(10)
	v_mul_f32_e32 v210, v5, v167
	v_mul_f32_e32 v5, v5, v166
	v_fma_f32 v5, v4, v167, -v5
	v_mul_f32_e32 v167, v1, v169
	v_mul_f32_e32 v1, v1, v168
	v_fmac_f32_e32 v210, v4, v166
	s_waitcnt lgkmcnt(9)
	v_mul_f32_e32 v166, v7, v171
	v_fmac_f32_e32 v167, v0, v168
	v_fma_f32 v168, v0, v169, -v1
	v_mul_f32_e32 v0, v3, v172
	v_fmac_f32_e32 v166, v6, v170
	v_mul_f32_e32 v4, v7, v170
	v_fma_f32 v170, v2, v173, -v0
	s_waitcnt lgkmcnt(7)
	v_mul_f32_e32 v0, v13, v178
	v_fma_f32 v6, v6, v171, -v4
	v_mul_f32_e32 v169, v3, v173
	v_mul_f32_e32 v171, v13, v179
	v_fma_f32 v13, v12, v179, -v0
	s_waitcnt lgkmcnt(6)
	v_mul_f32_e32 v0, v15, v182
	v_fmac_f32_e32 v169, v2, v172
	v_mul_f32_e32 v172, v15, v183
	v_fma_f32 v15, v14, v183, -v0
	v_mul_f32_e32 v0, v9, v180
	v_fmac_f32_e32 v171, v12, v178
	v_mul_f32_e32 v173, v9, v181
	v_fma_f32 v178, v8, v181, -v0
	v_mul_f32_e32 v0, v11, v184
	v_fmac_f32_e32 v173, v8, v180
	v_fma_f32 v180, v10, v185, -v0
	s_waitcnt lgkmcnt(4)
	v_mul_f32_e32 v0, v21, v190
	v_fmac_f32_e32 v172, v14, v182
	v_fma_f32 v182, v20, v191, -v0
	s_waitcnt lgkmcnt(3)
	v_mul_f32_e32 v0, v23, v194
	v_mul_f32_e32 v183, v23, v195
	v_fma_f32 v23, v22, v195, -v0
	v_mul_f32_e32 v0, v17, v192
	v_add_f32_e32 v1, v210, v166
	v_mul_f32_e32 v179, v11, v185
	v_fma_f32 v185, v16, v193, -v0
	v_mul_f32_e32 v0, v19, v196
	v_fma_f32 v2, -0.5, v1, v162
	v_mul_f32_e32 v181, v21, v191
	v_fma_f32 v191, v18, v197, -v0
	s_waitcnt lgkmcnt(1)
	v_mul_f32_e32 v0, v29, v202
	v_sub_f32_e32 v1, v5, v6
	v_mov_b32_e32 v4, v2
	v_add_f32_e32 v3, v5, v6
	v_fmac_f32_e32 v179, v10, v184
	v_mul_f32_e32 v184, v17, v193
	v_fma_f32 v193, v28, v203, -v0
	s_waitcnt lgkmcnt(0)
	v_mul_f32_e32 v0, v31, v206
	v_fmac_f32_e32 v4, 0xbf5db3d7, v1
	v_fmac_f32_e32 v2, 0x3f5db3d7, v1
	v_add_f32_e32 v1, v163, v5
	v_fma_f32 v3, -0.5, v3, v163
	v_fmac_f32_e32 v181, v20, v190
	v_fmac_f32_e32 v184, v16, v192
	v_mul_f32_e32 v190, v19, v197
	v_mul_f32_e32 v192, v29, v203
	v_fma_f32 v195, v30, v207, -v0
	v_add_f32_e32 v1, v1, v6
	v_sub_f32_e32 v6, v210, v166
	v_mov_b32_e32 v5, v3
	v_add_f32_e32 v7, v167, v169
	v_fmac_f32_e32 v183, v22, v194
	v_fmac_f32_e32 v190, v18, v196
	;; [unrolled: 1-line block ×3, first 2 shown]
	v_mul_f32_e32 v194, v31, v207
	v_mul_f32_e32 v196, v25, v205
	;; [unrolled: 1-line block ×3, first 2 shown]
	v_fmac_f32_e32 v5, 0x3f5db3d7, v6
	v_fmac_f32_e32 v3, 0xbf5db3d7, v6
	v_add_f32_e32 v6, v164, v167
	v_fma_f32 v164, -0.5, v7, v164
	v_add_f32_e32 v163, v193, v195
	v_fmac_f32_e32 v194, v30, v206
	v_fmac_f32_e32 v196, v24, v204
	v_mul_f32_e32 v0, v25, v204
	v_fmac_f32_e32 v202, v26, v208
	v_sub_f32_e32 v7, v168, v170
	v_mov_b32_e32 v8, v164
	v_add_f32_e32 v9, v168, v170
	v_fma_f32 v163, -0.5, v163, v199
	v_fma_f32 v197, v24, v205, -v0
	v_mul_f32_e32 v0, v27, v208
	v_add_f32_e32 v6, v6, v169
	v_fmac_f32_e32 v8, 0xbf5db3d7, v7
	v_fmac_f32_e32 v164, 0x3f5db3d7, v7
	v_add_f32_e32 v7, v165, v168
	v_fmac_f32_e32 v165, -0.5, v9
	v_sub_f32_e32 v10, v167, v169
	v_sub_f32_e32 v168, v192, v194
	v_mov_b32_e32 v167, v163
	v_add_f32_e32 v169, v196, v202
	v_fma_f32 v203, v26, v209, -v0
	v_mov_b32_e32 v9, v165
	v_fmac_f32_e32 v167, 0x3f5db3d7, v168
	v_fmac_f32_e32 v163, 0xbf5db3d7, v168
	v_add_f32_e32 v168, v200, v196
	v_fma_f32 v200, -0.5, v169, v200
	v_add_f32_e32 v7, v7, v170
	v_fmac_f32_e32 v9, 0x3f5db3d7, v10
	v_fmac_f32_e32 v165, 0xbf5db3d7, v10
	v_add_f32_e32 v10, v174, v171
	v_add_f32_e32 v11, v171, v172
	v_sub_f32_e32 v16, v171, v172
	v_sub_f32_e32 v169, v197, v203
	v_mov_b32_e32 v170, v200
	v_add_f32_e32 v171, v197, v203
	v_fmac_f32_e32 v170, 0xbf5db3d7, v169
	v_fmac_f32_e32 v200, 0x3f5db3d7, v169
	v_add_f32_e32 v169, v201, v197
	v_fmac_f32_e32 v201, -0.5, v171
	v_add_f32_e32 v10, v10, v172
	v_sub_f32_e32 v172, v196, v202
	v_mov_b32_e32 v171, v201
	v_fmac_f32_e32 v171, 0x3f5db3d7, v172
	v_fmac_f32_e32 v201, 0xbf5db3d7, v172
	s_waitcnt lgkmcnt(0)
	; wave barrier
	buffer_load_dword v172, off, s[20:23], 0 offset:308 ; 4-byte Folded Reload
	v_add_f32_e32 v0, v162, v210
	v_add_f32_e32 v0, v0, v166
	s_waitcnt vmcnt(0)
	ds_write2_b64 v172, v[0:1], v[4:5] offset1:8
	ds_write_b64 v172, v[2:3] offset:128
	buffer_load_dword v0, off, s[20:23], 0 offset:312 ; 4-byte Folded Reload
	s_waitcnt vmcnt(0)
	ds_write2_b64 v0, v[6:7], v[8:9] offset1:8
	ds_write_b64 v0, v[164:165] offset:128
	buffer_load_dword v0, off, s[20:23], 0 offset:316 ; 4-byte Folded Reload
	v_fma_f32 v12, -0.5, v11, v174
	v_sub_f32_e32 v11, v13, v15
	v_mov_b32_e32 v14, v12
	v_fmac_f32_e32 v14, 0xbf5db3d7, v11
	v_fmac_f32_e32 v12, 0x3f5db3d7, v11
	v_add_f32_e32 v11, v175, v13
	v_add_f32_e32 v13, v13, v15
	v_fma_f32 v13, -0.5, v13, v175
	v_add_f32_e32 v11, v11, v15
	v_mov_b32_e32 v15, v13
	v_fmac_f32_e32 v15, 0x3f5db3d7, v16
	v_fmac_f32_e32 v13, 0xbf5db3d7, v16
	s_waitcnt vmcnt(0)
	ds_write2_b64 v0, v[10:11], v[14:15] offset1:8
	ds_write_b64 v0, v[12:13] offset:128
	buffer_load_dword v0, off, s[20:23], 0 offset:320 ; 4-byte Folded Reload
	v_add_f32_e32 v17, v173, v179
	v_add_f32_e32 v16, v176, v173
	v_fma_f32 v176, -0.5, v17, v176
	v_sub_f32_e32 v17, v178, v180
	v_mov_b32_e32 v18, v176
	v_add_f32_e32 v19, v178, v180
	v_fmac_f32_e32 v18, 0xbf5db3d7, v17
	v_fmac_f32_e32 v176, 0x3f5db3d7, v17
	v_add_f32_e32 v17, v177, v178
	v_fmac_f32_e32 v177, -0.5, v19
	v_sub_f32_e32 v20, v173, v179
	v_mov_b32_e32 v19, v177
	v_add_f32_e32 v16, v16, v179
	v_add_f32_e32 v17, v17, v180
	v_fmac_f32_e32 v19, 0x3f5db3d7, v20
	v_fmac_f32_e32 v177, 0xbf5db3d7, v20
	s_waitcnt vmcnt(0)
	ds_write2_b64 v0, v[16:17], v[18:19] offset1:8
	ds_write_b64 v0, v[176:177] offset:128
	buffer_load_dword v0, off, s[20:23], 0 offset:324 ; 4-byte Folded Reload
	v_add_f32_e32 v21, v181, v183
	v_fma_f32 v22, -0.5, v21, v186
	v_sub_f32_e32 v21, v182, v23
	v_mov_b32_e32 v24, v22
	v_fmac_f32_e32 v24, 0xbf5db3d7, v21
	v_fmac_f32_e32 v22, 0x3f5db3d7, v21
	v_add_f32_e32 v21, v187, v182
	v_add_f32_e32 v21, v21, v23
	;; [unrolled: 1-line block ×3, first 2 shown]
	v_fma_f32 v23, -0.5, v23, v187
	v_add_f32_e32 v20, v186, v181
	v_sub_f32_e32 v26, v181, v183
	v_mov_b32_e32 v25, v23
	v_add_f32_e32 v20, v20, v183
	v_fmac_f32_e32 v25, 0x3f5db3d7, v26
	v_fmac_f32_e32 v23, 0xbf5db3d7, v26
	s_waitcnt vmcnt(0)
	ds_write2_b64 v0, v[20:21], v[24:25] offset1:8
	ds_write_b64 v0, v[22:23] offset:128
	buffer_load_dword v0, off, s[20:23], 0 offset:328 ; 4-byte Folded Reload
	v_add_f32_e32 v27, v184, v190
	v_add_f32_e32 v26, v188, v184
	v_fma_f32 v188, -0.5, v27, v188
	v_sub_f32_e32 v27, v185, v191
	v_mov_b32_e32 v28, v188
	v_add_f32_e32 v29, v185, v191
	v_fmac_f32_e32 v28, 0xbf5db3d7, v27
	v_fmac_f32_e32 v188, 0x3f5db3d7, v27
	v_add_f32_e32 v27, v189, v185
	v_fmac_f32_e32 v189, -0.5, v29
	v_sub_f32_e32 v30, v184, v190
	v_mov_b32_e32 v29, v189
	v_add_f32_e32 v26, v26, v190
	v_add_f32_e32 v27, v27, v191
	v_fmac_f32_e32 v29, 0x3f5db3d7, v30
	v_fmac_f32_e32 v189, 0xbf5db3d7, v30
	s_waitcnt vmcnt(0)
	ds_write2_b64 v0, v[26:27], v[28:29] offset1:8
	ds_write_b64 v0, v[188:189] offset:128
	buffer_load_dword v0, off, s[20:23], 0 offset:332 ; 4-byte Folded Reload
	v_add_f32_e32 v31, v192, v194
	v_fma_f32 v162, -0.5, v31, v198
	v_sub_f32_e32 v31, v193, v195
	v_mov_b32_e32 v166, v162
	v_add_f32_e32 v30, v198, v192
	v_fmac_f32_e32 v166, 0xbf5db3d7, v31
	v_fmac_f32_e32 v162, 0x3f5db3d7, v31
	v_add_f32_e32 v31, v199, v193
	v_add_f32_e32 v30, v30, v194
	;; [unrolled: 1-line block ×3, first 2 shown]
	s_waitcnt vmcnt(0)
	ds_write2_b64 v0, v[30:31], v[166:167] offset1:8
	ds_write_b64 v0, v[162:163] offset:128
	buffer_load_dword v0, off, s[20:23], 0 offset:336 ; 4-byte Folded Reload
	v_add_f32_e32 v168, v168, v202
	v_add_f32_e32 v169, v169, v203
	s_waitcnt vmcnt(0)
	ds_write2_b64 v0, v[168:169], v[170:171] offset1:8
	ds_write_b64 v0, v[200:201] offset:128
	s_waitcnt lgkmcnt(0)
	; wave barrier
	s_waitcnt lgkmcnt(0)
	ds_read2_b64 v[0:3], v253 offset1:63
	ds_read2_b64 v[4:7], v161 offset0:120 offset1:183
	ds_read2_b64 v[8:11], v155 offset0:112 offset1:175
	;; [unrolled: 1-line block ×11, first 2 shown]
	s_waitcnt lgkmcnt(10)
	v_mul_f32_e32 v178, v37, v5
	v_fmac_f32_e32 v178, v36, v4
	v_mul_f32_e32 v4, v37, v4
	v_fma_f32 v36, v36, v5, -v4
	s_waitcnt lgkmcnt(9)
	v_mul_f32_e32 v37, v39, v9
	v_mul_f32_e32 v4, v39, v8
	v_fmac_f32_e32 v37, v38, v8
	v_fma_f32 v8, v38, v9, -v4
	v_mul_f32_e32 v38, v33, v7
	v_mul_f32_e32 v4, v33, v6
	v_fmac_f32_e32 v38, v32, v6
	v_fma_f32 v32, v32, v7, -v4
	v_mul_f32_e32 v4, v35, v10
	v_mul_f32_e32 v33, v35, v11
	v_fma_f32 v11, v34, v11, -v4
	s_waitcnt lgkmcnt(7)
	v_mul_f32_e32 v4, v45, v16
	v_fmac_f32_e32 v33, v34, v10
	v_mul_f32_e32 v34, v45, v17
	v_fma_f32 v35, v44, v17, -v4
	s_waitcnt lgkmcnt(6)
	v_mul_f32_e32 v39, v47, v21
	v_mul_f32_e32 v4, v47, v20
	v_fmac_f32_e32 v34, v44, v16
	v_fmac_f32_e32 v39, v46, v20
	v_fma_f32 v20, v46, v21, -v4
	v_mul_f32_e32 v44, v41, v19
	v_mul_f32_e32 v4, v41, v18
	v_fmac_f32_e32 v44, v40, v18
	v_fma_f32 v40, v40, v19, -v4
	v_mul_f32_e32 v4, v43, v22
	v_mul_f32_e32 v41, v43, v23
	v_fma_f32 v23, v42, v23, -v4
	s_waitcnt lgkmcnt(4)
	v_mul_f32_e32 v4, v53, v28
	v_fma_f32 v43, v52, v29, -v4
	s_waitcnt lgkmcnt(3)
	v_mul_f32_e32 v4, v55, v162
	v_fma_f32 v46, v54, v163, -v4
	v_mul_f32_e32 v47, v49, v31
	v_mul_f32_e32 v4, v49, v30
	v_fmac_f32_e32 v47, v48, v30
	v_fma_f32 v48, v48, v31, -v4
	v_mul_f32_e32 v49, v51, v165
	v_mul_f32_e32 v4, v51, v164
	v_fmac_f32_e32 v41, v42, v22
	v_mul_f32_e32 v42, v53, v29
	v_fmac_f32_e32 v49, v50, v164
	v_fma_f32 v50, v50, v165, -v4
	s_waitcnt lgkmcnt(1)
	v_mul_f32_e32 v4, v61, v170
	v_fmac_f32_e32 v42, v52, v28
	v_mul_f32_e32 v45, v55, v163
	v_fma_f32 v52, v60, v171, -v4
	s_waitcnt lgkmcnt(0)
	v_mul_f32_e32 v4, v63, v174
	v_fmac_f32_e32 v45, v54, v162
	v_fma_f32 v54, v62, v175, -v4
	v_mul_f32_e32 v55, v57, v173
	v_mul_f32_e32 v4, v57, v172
	v_fmac_f32_e32 v55, v56, v172
	v_fma_f32 v56, v56, v173, -v4
	v_mul_f32_e32 v57, v59, v177
	v_mul_f32_e32 v4, v59, v176
	v_add_f32_e32 v5, v178, v37
	v_fmac_f32_e32 v57, v58, v176
	v_fma_f32 v58, v58, v177, -v4
	v_add_f32_e32 v4, v0, v178
	v_fma_f32 v0, -0.5, v5, v0
	v_sub_f32_e32 v5, v36, v8
	v_mov_b32_e32 v6, v0
	v_add_f32_e32 v7, v36, v8
	v_fmac_f32_e32 v6, 0xbf5db3d7, v5
	v_fmac_f32_e32 v0, 0x3f5db3d7, v5
	v_add_f32_e32 v5, v1, v36
	v_fma_f32 v1, -0.5, v7, v1
	v_add_f32_e32 v5, v5, v8
	v_sub_f32_e32 v8, v178, v37
	v_mov_b32_e32 v7, v1
	v_add_f32_e32 v9, v38, v33
	v_fmac_f32_e32 v7, 0x3f5db3d7, v8
	v_fmac_f32_e32 v1, 0xbf5db3d7, v8
	v_add_f32_e32 v8, v2, v38
	v_fma_f32 v2, -0.5, v9, v2
	v_sub_f32_e32 v9, v32, v11
	v_mov_b32_e32 v10, v2
	v_fmac_f32_e32 v10, 0xbf5db3d7, v9
	v_fmac_f32_e32 v2, 0x3f5db3d7, v9
	v_add_f32_e32 v9, v3, v32
	v_add_f32_e32 v9, v9, v11
	;; [unrolled: 1-line block ×3, first 2 shown]
	v_fmac_f32_e32 v3, -0.5, v11
	v_sub_f32_e32 v16, v38, v33
	v_mov_b32_e32 v11, v3
	v_add_f32_e32 v17, v34, v39
	v_fmac_f32_e32 v11, 0x3f5db3d7, v16
	v_fmac_f32_e32 v3, 0xbf5db3d7, v16
	v_add_f32_e32 v16, v12, v34
	v_fma_f32 v12, -0.5, v17, v12
	v_sub_f32_e32 v17, v35, v20
	v_mov_b32_e32 v18, v12
	v_add_f32_e32 v19, v35, v20
	v_fmac_f32_e32 v18, 0xbf5db3d7, v17
	v_fmac_f32_e32 v12, 0x3f5db3d7, v17
	v_add_f32_e32 v17, v13, v35
	v_fma_f32 v13, -0.5, v19, v13
	v_add_f32_e32 v17, v17, v20
	v_sub_f32_e32 v20, v34, v39
	v_mov_b32_e32 v19, v13
	v_add_f32_e32 v21, v44, v41
	v_fmac_f32_e32 v19, 0x3f5db3d7, v20
	v_fmac_f32_e32 v13, 0xbf5db3d7, v20
	v_add_f32_e32 v20, v14, v44
	v_fma_f32 v14, -0.5, v21, v14
	v_sub_f32_e32 v21, v40, v23
	v_mov_b32_e32 v22, v14
	v_fmac_f32_e32 v22, 0xbf5db3d7, v21
	v_fmac_f32_e32 v14, 0x3f5db3d7, v21
	v_add_f32_e32 v21, v15, v40
	v_add_f32_e32 v21, v21, v23
	;; [unrolled: 1-line block ×3, first 2 shown]
	v_fmac_f32_e32 v15, -0.5, v23
	v_sub_f32_e32 v28, v44, v41
	v_mov_b32_e32 v23, v15
	v_add_f32_e32 v29, v42, v45
	v_mul_f32_e32 v51, v61, v171
	v_mul_f32_e32 v53, v63, v175
	v_add_f32_e32 v16, v16, v39
	v_fmac_f32_e32 v23, 0x3f5db3d7, v28
	v_fmac_f32_e32 v15, 0xbf5db3d7, v28
	v_add_f32_e32 v28, v24, v42
	v_fma_f32 v24, -0.5, v29, v24
	v_add_f32_e32 v39, v52, v54
	v_fmac_f32_e32 v51, v60, v170
	v_fmac_f32_e32 v53, v62, v174
	v_sub_f32_e32 v29, v43, v46
	v_mov_b32_e32 v30, v24
	v_fma_f32 v39, -0.5, v39, v167
	v_add_f32_e32 v20, v20, v41
	v_fmac_f32_e32 v30, 0xbf5db3d7, v29
	v_fmac_f32_e32 v24, 0x3f5db3d7, v29
	v_add_f32_e32 v29, v25, v43
	v_add_f32_e32 v31, v43, v46
	v_sub_f32_e32 v32, v42, v45
	v_sub_f32_e32 v42, v51, v53
	v_mov_b32_e32 v41, v39
	v_add_f32_e32 v43, v55, v57
	v_fmac_f32_e32 v41, 0x3f5db3d7, v42
	v_fmac_f32_e32 v39, 0xbf5db3d7, v42
	v_add_f32_e32 v42, v168, v55
	v_fma_f32 v168, -0.5, v43, v168
	v_add_f32_e32 v28, v28, v45
	v_sub_f32_e32 v43, v56, v58
	v_mov_b32_e32 v44, v168
	v_add_f32_e32 v45, v56, v58
	v_fmac_f32_e32 v44, 0xbf5db3d7, v43
	v_fmac_f32_e32 v168, 0x3f5db3d7, v43
	v_add_f32_e32 v43, v169, v56
	v_fmac_f32_e32 v169, -0.5, v45
	v_add_f32_e32 v29, v29, v46
	v_sub_f32_e32 v46, v55, v57
	v_mov_b32_e32 v45, v169
	v_fmac_f32_e32 v45, 0x3f5db3d7, v46
	v_fmac_f32_e32 v169, 0xbf5db3d7, v46
	s_waitcnt lgkmcnt(0)
	; wave barrier
	buffer_load_dword v46, off, s[20:23], 0 offset:340 ; 4-byte Folded Reload
	v_add_f32_e32 v4, v4, v37
	s_waitcnt vmcnt(0)
	ds_write2_b64 v46, v[4:5], v[6:7] offset1:24
	ds_write_b64 v46, v[0:1] offset:384
	buffer_load_dword v0, off, s[20:23], 0 offset:344 ; 4-byte Folded Reload
	v_add_f32_e32 v8, v8, v33
	s_waitcnt vmcnt(0)
	ds_write2_b64 v0, v[8:9], v[10:11] offset1:24
	ds_write_b64 v0, v[2:3] offset:384
	buffer_load_dword v0, off, s[20:23], 0 offset:348 ; 4-byte Folded Reload
	s_waitcnt vmcnt(0)
	ds_write2_b64 v0, v[16:17], v[18:19] offset1:24
	ds_write_b64 v0, v[12:13] offset:384
	buffer_load_dword v0, off, s[20:23], 0 offset:352 ; 4-byte Folded Reload
	;; [unrolled: 4-line block ×3, first 2 shown]
	v_fma_f32 v25, -0.5, v31, v25
	v_mov_b32_e32 v31, v25
	v_fmac_f32_e32 v31, 0x3f5db3d7, v32
	v_fmac_f32_e32 v25, 0xbf5db3d7, v32
	s_waitcnt vmcnt(0)
	ds_write2_b64 v0, v[28:29], v[30:31] offset1:24
	ds_write_b64 v0, v[24:25] offset:384
	buffer_load_dword v0, off, s[20:23], 0 offset:360 ; 4-byte Folded Reload
	v_add_f32_e32 v33, v47, v49
	v_add_f32_e32 v32, v26, v47
	v_fma_f32 v26, -0.5, v33, v26
	v_sub_f32_e32 v33, v48, v50
	v_mov_b32_e32 v34, v26
	v_add_f32_e32 v35, v48, v50
	v_fmac_f32_e32 v34, 0xbf5db3d7, v33
	v_fmac_f32_e32 v26, 0x3f5db3d7, v33
	v_add_f32_e32 v33, v27, v48
	v_fmac_f32_e32 v27, -0.5, v35
	v_sub_f32_e32 v36, v47, v49
	v_mov_b32_e32 v35, v27
	v_add_f32_e32 v32, v32, v49
	v_add_f32_e32 v33, v33, v50
	v_fmac_f32_e32 v35, 0x3f5db3d7, v36
	v_fmac_f32_e32 v27, 0xbf5db3d7, v36
	s_waitcnt vmcnt(0)
	ds_write2_b64 v0, v[32:33], v[34:35] offset1:24
	ds_write_b64 v0, v[26:27] offset:384
	buffer_load_dword v0, off, s[20:23], 0 offset:364 ; 4-byte Folded Reload
	v_add_f32_e32 v37, v51, v53
	v_fma_f32 v38, -0.5, v37, v166
	v_sub_f32_e32 v37, v52, v54
	v_mov_b32_e32 v40, v38
	v_add_f32_e32 v36, v166, v51
	v_fmac_f32_e32 v40, 0xbf5db3d7, v37
	v_fmac_f32_e32 v38, 0x3f5db3d7, v37
	v_add_f32_e32 v37, v167, v52
	v_add_f32_e32 v36, v36, v53
	;; [unrolled: 1-line block ×3, first 2 shown]
	s_waitcnt vmcnt(0)
	ds_write2_b64 v0, v[36:37], v[40:41] offset1:24
	ds_write_b64 v0, v[38:39] offset:384
	buffer_load_dword v0, off, s[20:23], 0 offset:368 ; 4-byte Folded Reload
	v_add_f32_e32 v42, v42, v57
	v_add_f32_e32 v43, v43, v58
	s_waitcnt vmcnt(0)
	ds_write2_b64 v0, v[42:43], v[44:45] offset1:24
	ds_write_b64 v0, v[168:169] offset:384
	s_waitcnt lgkmcnt(0)
	; wave barrier
	s_waitcnt lgkmcnt(0)
	ds_read2_b64 v[6:9], v253 offset1:63
	ds_read2_b64 v[10:13], v161 offset0:120 offset1:183
	ds_read2_b64 v[14:17], v155 offset0:112 offset1:175
	;; [unrolled: 1-line block ×11, first 2 shown]
	s_waitcnt lgkmcnt(10)
	v_mul_f32_e32 v4, v69, v11
	v_fmac_f32_e32 v4, v68, v10
	v_mul_f32_e32 v5, v69, v10
	s_waitcnt lgkmcnt(9)
	v_mul_f32_e32 v10, v71, v14
	v_mul_f32_e32 v50, v71, v15
	v_fma_f32 v15, v70, v15, -v10
	v_mul_f32_e32 v10, v73, v12
	v_fma_f32 v52, v72, v13, -v10
	;; [unrolled: 2-line block ×3, first 2 shown]
	s_waitcnt lgkmcnt(7)
	v_mul_f32_e32 v10, v65, v22
	v_fma_f32 v56, v64, v23, -v10
	s_waitcnt lgkmcnt(6)
	v_mul_f32_e32 v10, v67, v26
	v_mul_f32_e32 v57, v67, v27
	v_fma_f32 v27, v66, v27, -v10
	v_mul_f32_e32 v10, v77, v24
	v_fma_f32 v59, v76, v25, -v10
	v_mul_f32_e32 v10, v79, v28
	v_fma_f32 v61, v78, v29, -v10
	s_waitcnt lgkmcnt(4)
	v_mul_f32_e32 v10, v81, v34
	v_mul_f32_e32 v55, v65, v23
	v_fma_f32 v63, v80, v35, -v10
	s_waitcnt lgkmcnt(3)
	v_mul_f32_e32 v10, v83, v38
	v_fmac_f32_e32 v55, v64, v22
	v_mul_f32_e32 v64, v83, v39
	v_fma_f32 v39, v82, v39, -v10
	v_mul_f32_e32 v10, v89, v36
	v_fmac_f32_e32 v57, v66, v26
	v_fma_f32 v66, v88, v37, -v10
	v_mul_f32_e32 v10, v91, v40
	v_fma_f32 v5, v68, v11, -v5
	v_fma_f32 v68, v90, v41, -v10
	s_waitcnt lgkmcnt(1)
	v_mul_f32_e32 v10, v85, v42
	v_fmac_f32_e32 v50, v70, v14
	v_fma_f32 v70, v84, v43, -v10
	s_waitcnt lgkmcnt(0)
	v_mul_f32_e32 v10, v87, v46
	v_mul_f32_e32 v51, v73, v13
	;; [unrolled: 1-line block ×4, first 2 shown]
	v_fma_f32 v47, v86, v47, -v10
	v_mul_f32_e32 v10, v93, v44
	v_add_f32_e32 v11, v4, v50
	v_fmac_f32_e32 v51, v72, v12
	v_fmac_f32_e32 v53, v74, v16
	v_fma_f32 v73, v92, v45, -v10
	v_mul_f32_e32 v74, v95, v49
	v_mul_f32_e32 v10, v95, v48
	v_fma_f32 v12, -0.5, v11, v6
	v_fmac_f32_e32 v74, v94, v48
	v_fma_f32 v48, v94, v49, -v10
	v_add_f32_e32 v10, v6, v4
	v_sub_f32_e32 v6, v5, v15
	v_mov_b32_e32 v14, v12
	v_fmac_f32_e32 v14, 0xbf5db3d7, v6
	v_fmac_f32_e32 v12, 0x3f5db3d7, v6
	v_add_f32_e32 v6, v7, v5
	v_add_f32_e32 v5, v5, v15
	v_fma_f32 v13, -0.5, v5, v7
	v_add_f32_e32 v11, v6, v15
	v_sub_f32_e32 v4, v4, v50
	v_mov_b32_e32 v15, v13
	v_add_f32_e32 v10, v10, v50
	v_fmac_f32_e32 v15, 0x3f5db3d7, v4
	v_fmac_f32_e32 v13, 0xbf5db3d7, v4
	s_waitcnt lgkmcnt(0)
	; wave barrier
	ds_write2_b64 v253, v[10:11], v[14:15] offset1:72
	ds_write_b64 v253, v[12:13] offset:1152
	buffer_load_dword v10, off, s[20:23], 0 offset:372 ; 4-byte Folded Reload
	v_add_f32_e32 v4, v8, v51
	v_add_f32_e32 v16, v4, v53
	;; [unrolled: 1-line block ×3, first 2 shown]
	v_fma_f32 v8, -0.5, v4, v8
	v_sub_f32_e32 v4, v52, v54
	v_mov_b32_e32 v22, v8
	v_fmac_f32_e32 v22, 0xbf5db3d7, v4
	v_fmac_f32_e32 v8, 0x3f5db3d7, v4
	v_add_f32_e32 v4, v9, v52
	v_add_f32_e32 v17, v4, v54
	;; [unrolled: 1-line block ×3, first 2 shown]
	v_fmac_f32_e32 v9, -0.5, v4
	v_sub_f32_e32 v4, v51, v53
	v_mov_b32_e32 v23, v9
	v_fmac_f32_e32 v23, 0x3f5db3d7, v4
	v_fmac_f32_e32 v9, 0xbf5db3d7, v4
	s_waitcnt vmcnt(0)
	ds_write2_b64 v10, v[16:17], v[22:23] offset1:72
	ds_write_b64 v10, v[8:9] offset:1152
	buffer_load_dword v8, off, s[20:23], 0 offset:376 ; 4-byte Folded Reload
	v_mul_f32_e32 v58, v77, v25
	v_add_f32_e32 v4, v18, v55
	v_fmac_f32_e32 v58, v76, v24
	v_add_f32_e32 v24, v4, v57
	v_add_f32_e32 v4, v55, v57
	v_fma_f32 v18, -0.5, v4, v18
	v_sub_f32_e32 v4, v56, v27
	v_mov_b32_e32 v26, v18
	v_fmac_f32_e32 v26, 0xbf5db3d7, v4
	v_fmac_f32_e32 v18, 0x3f5db3d7, v4
	v_add_f32_e32 v4, v19, v56
	v_add_f32_e32 v25, v4, v27
	;; [unrolled: 1-line block ×3, first 2 shown]
	v_fma_f32 v19, -0.5, v4, v19
	v_sub_f32_e32 v4, v55, v57
	v_mov_b32_e32 v27, v19
	v_fmac_f32_e32 v27, 0x3f5db3d7, v4
	v_fmac_f32_e32 v19, 0xbf5db3d7, v4
	s_waitcnt vmcnt(0)
	ds_write2_b64 v8, v[24:25], v[26:27] offset1:72
	ds_write_b64 v8, v[18:19] offset:1152
	buffer_load_dword v8, off, s[20:23], 0 offset:380 ; 4-byte Folded Reload
	v_mul_f32_e32 v60, v79, v29
	v_fmac_f32_e32 v60, v78, v28
	v_add_f32_e32 v4, v20, v58
	v_add_f32_e32 v28, v4, v60
	;; [unrolled: 1-line block ×3, first 2 shown]
	v_mul_f32_e32 v62, v81, v35
	v_fma_f32 v20, -0.5, v4, v20
	v_fmac_f32_e32 v62, v80, v34
	v_sub_f32_e32 v4, v59, v61
	v_mov_b32_e32 v34, v20
	v_fmac_f32_e32 v34, 0xbf5db3d7, v4
	v_fmac_f32_e32 v20, 0x3f5db3d7, v4
	v_add_f32_e32 v4, v21, v59
	v_add_f32_e32 v29, v4, v61
	;; [unrolled: 1-line block ×3, first 2 shown]
	v_fmac_f32_e32 v21, -0.5, v4
	v_sub_f32_e32 v4, v58, v60
	v_mov_b32_e32 v35, v21
	v_fmac_f32_e32 v35, 0x3f5db3d7, v4
	v_fmac_f32_e32 v21, 0xbf5db3d7, v4
	s_waitcnt vmcnt(0)
	ds_write2_b64 v8, v[28:29], v[34:35] offset1:72
	ds_write_b64 v8, v[20:21] offset:1152
	buffer_load_dword v8, off, s[20:23], 0 offset:384 ; 4-byte Folded Reload
	v_fmac_f32_e32 v64, v82, v38
	v_mul_f32_e32 v65, v89, v37
	v_add_f32_e32 v4, v30, v62
	v_fmac_f32_e32 v65, v88, v36
	v_add_f32_e32 v36, v4, v64
	v_add_f32_e32 v4, v62, v64
	v_fma_f32 v30, -0.5, v4, v30
	v_sub_f32_e32 v4, v63, v39
	v_mov_b32_e32 v38, v30
	v_fmac_f32_e32 v38, 0xbf5db3d7, v4
	v_fmac_f32_e32 v30, 0x3f5db3d7, v4
	v_add_f32_e32 v4, v31, v63
	v_add_f32_e32 v37, v4, v39
	v_add_f32_e32 v4, v63, v39
	v_fma_f32 v31, -0.5, v4, v31
	v_sub_f32_e32 v4, v62, v64
	v_mov_b32_e32 v39, v31
	v_fmac_f32_e32 v39, 0x3f5db3d7, v4
	v_fmac_f32_e32 v31, 0xbf5db3d7, v4
	s_waitcnt vmcnt(0)
	ds_write2_b64 v8, v[36:37], v[38:39] offset1:72
	ds_write_b64 v8, v[30:31] offset:1152
	buffer_load_dword v8, off, s[20:23], 0 offset:388 ; 4-byte Folded Reload
	v_mul_f32_e32 v67, v91, v41
	v_fmac_f32_e32 v67, v90, v40
	v_add_f32_e32 v4, v32, v65
	v_add_f32_e32 v40, v4, v67
	v_add_f32_e32 v4, v65, v67
	v_mul_f32_e32 v69, v85, v43
	v_fma_f32 v32, -0.5, v4, v32
	v_fmac_f32_e32 v69, v84, v42
	v_sub_f32_e32 v4, v66, v68
	v_mov_b32_e32 v42, v32
	v_fmac_f32_e32 v42, 0xbf5db3d7, v4
	v_fmac_f32_e32 v32, 0x3f5db3d7, v4
	v_add_f32_e32 v4, v33, v66
	v_add_f32_e32 v41, v4, v68
	;; [unrolled: 1-line block ×3, first 2 shown]
	v_fmac_f32_e32 v33, -0.5, v4
	v_sub_f32_e32 v4, v65, v67
	v_mov_b32_e32 v43, v33
	v_fmac_f32_e32 v43, 0x3f5db3d7, v4
	v_fmac_f32_e32 v33, 0xbf5db3d7, v4
	s_waitcnt vmcnt(0)
	ds_write2_b64 v8, v[40:41], v[42:43] offset1:72
	ds_write_b64 v8, v[32:33] offset:1152
	buffer_load_dword v8, off, s[20:23], 0 offset:392 ; 4-byte Folded Reload
	v_fmac_f32_e32 v71, v86, v46
	v_mul_f32_e32 v72, v93, v45
	v_add_f32_e32 v4, v0, v69
	v_fmac_f32_e32 v72, v92, v44
	v_add_f32_e32 v44, v4, v71
	v_add_f32_e32 v4, v69, v71
	v_fma_f32 v0, -0.5, v4, v0
	v_sub_f32_e32 v4, v70, v47
	v_mov_b32_e32 v46, v0
	v_fmac_f32_e32 v46, 0xbf5db3d7, v4
	v_fmac_f32_e32 v0, 0x3f5db3d7, v4
	v_add_f32_e32 v4, v1, v70
	v_add_f32_e32 v45, v4, v47
	;; [unrolled: 1-line block ×3, first 2 shown]
	v_fma_f32 v1, -0.5, v4, v1
	v_sub_f32_e32 v4, v69, v71
	v_mov_b32_e32 v47, v1
	v_fmac_f32_e32 v47, 0x3f5db3d7, v4
	v_fmac_f32_e32 v1, 0xbf5db3d7, v4
	s_waitcnt vmcnt(0)
	ds_write2_b64 v8, v[44:45], v[46:47] offset1:72
	ds_write_b64 v8, v[0:1] offset:1152
	buffer_load_dword v1, off, s[20:23], 0 offset:396 ; 4-byte Folded Reload
	v_add_f32_e32 v5, v72, v74
	v_add_f32_e32 v4, v2, v72
	v_fma_f32 v2, -0.5, v5, v2
	v_sub_f32_e32 v5, v73, v48
	v_mov_b32_e32 v6, v2
	v_add_f32_e32 v7, v73, v48
	v_fmac_f32_e32 v6, 0xbf5db3d7, v5
	v_fmac_f32_e32 v2, 0x3f5db3d7, v5
	v_add_f32_e32 v5, v3, v73
	v_fmac_f32_e32 v3, -0.5, v7
	v_add_f32_e32 v5, v5, v48
	v_sub_f32_e32 v48, v72, v74
	v_mov_b32_e32 v7, v3
	v_add_f32_e32 v4, v4, v74
	v_fmac_f32_e32 v7, 0x3f5db3d7, v48
	v_fmac_f32_e32 v3, 0xbf5db3d7, v48
	s_waitcnt vmcnt(0)
	v_add_u32_e32 v0, 0x2800, v1
	ds_write2_b64 v0, v[4:5], v[6:7] offset0:16 offset1:88
	ds_write_b64 v1, v[2:3] offset:11520
	s_waitcnt lgkmcnt(0)
	; wave barrier
	s_waitcnt lgkmcnt(0)
	ds_read2_b64 v[12:15], v253 offset1:63
	ds_read2_b64 v[8:11], v253 offset0:126 offset1:216
	ds_read2_b64 v[44:47], v154 offset0:176 offset1:239
	;; [unrolled: 1-line block ×9, first 2 shown]
	ds_read_b64 v[0:1], v253 offset:11376
	s_and_saveexec_b64 s[4:5], s[0:1]
	s_cbranch_execz .LBB0_7
; %bb.6:
	v_add_u32_e32 v3, 0x1300, v253
	v_add_u32_e32 v2, 0x500, v253
	ds_read2_b64 v[144:147], v3 offset0:13 offset1:229
	ds_read2_b64 v[148:151], v156 offset0:29 offset1:245
	ds_read_b64 v[152:153], v253 offset:11880
	ds_read2_b64 v[4:7], v2 offset0:29 offset1:245
	s_waitcnt lgkmcnt(3)
	v_mov_b32_e32 v2, v144
	v_mov_b32_e32 v3, v145
.LBB0_7:
	s_or_b64 exec, exec, s[4:5]
	s_waitcnt lgkmcnt(9)
	v_mul_f32_e32 v48, v117, v11
	v_fmac_f32_e32 v48, v116, v10
	v_mul_f32_e32 v10, v117, v10
	v_fma_f32 v10, v116, v11, -v10
	s_waitcnt lgkmcnt(8)
	v_mul_f32_e32 v11, v119, v45
	v_fmac_f32_e32 v11, v118, v44
	v_mul_f32_e32 v44, v119, v44
	v_fma_f32 v44, v118, v45, -v44
	;; [unrolled: 5-line block ×7, first 2 shown]
	v_mul_f32_e32 v33, v127, v47
	v_fmac_f32_e32 v33, v126, v46
	v_mul_f32_e32 v46, v127, v46
	v_fma_f32 v46, v126, v47, -v46
	s_waitcnt lgkmcnt(2)
	v_mul_f32_e32 v47, v129, v29
	v_fmac_f32_e32 v47, v128, v28
	v_mul_f32_e32 v28, v129, v28
	v_fma_f32 v28, v128, v29, -v28
	v_mul_f32_e32 v29, v131, v43
	v_fmac_f32_e32 v29, v130, v42
	v_mul_f32_e32 v42, v131, v42
	v_fma_f32 v42, v130, v43, -v42
	s_waitcnt lgkmcnt(1)
	v_mul_f32_e32 v43, v121, v25
	v_fmac_f32_e32 v43, v120, v24
	v_mul_f32_e32 v24, v121, v24
	v_fma_f32 v24, v120, v25, -v24
	v_mul_f32_e32 v25, v123, v39
	v_mul_f32_e32 v50, v139, v21
	;; [unrolled: 1-line block ×3, first 2 shown]
	s_waitcnt lgkmcnt(0)
	v_mul_f32_e32 v58, v135, v1
	v_fmac_f32_e32 v25, v122, v38
	v_mul_f32_e32 v38, v123, v38
	v_fmac_f32_e32 v50, v138, v20
	;; [unrolled: 2-line block ×4, first 2 shown]
	v_mul_f32_e32 v0, v135, v0
	v_fma_f32 v38, v122, v39, -v38
	v_mul_f32_e32 v39, v137, v35
	v_fma_f32 v51, v138, v21, -v20
	;; [unrolled: 2-line block ×3, first 2 shown]
	v_mul_f32_e32 v56, v133, v27
	v_mul_f32_e32 v16, v133, v26
	v_fma_f32 v59, v134, v1, -v0
	v_add_f32_e32 v0, v48, v19
	v_add_f32_e32 v17, v11, v41
	v_fmac_f32_e32 v39, v136, v34
	v_mul_f32_e32 v34, v137, v34
	v_mul_f32_e32 v52, v141, v31
	v_fma_f32 v53, v140, v31, -v20
	v_fmac_f32_e32 v56, v132, v26
	v_fma_f32 v57, v132, v27, -v16
	v_add_f32_e32 v1, v10, v36
	v_sub_f32_e32 v16, v48, v19
	v_add_f32_e32 v19, v44, v18
	v_sub_f32_e32 v11, v11, v41
	;; [unrolled: 2-line block ×3, first 2 shown]
	v_add_f32_e32 v26, v17, v0
	v_fma_f32 v49, v136, v35, -v34
	v_fmac_f32_e32 v52, v140, v30
	v_sub_f32_e32 v18, v44, v18
	v_add_f32_e32 v21, v22, v40
	v_sub_f32_e32 v22, v40, v22
	v_add_f32_e32 v27, v19, v1
	v_sub_f32_e32 v30, v17, v0
	v_sub_f32_e32 v34, v0, v20
	;; [unrolled: 1-line block ×3, first 2 shown]
	v_add_f32_e32 v0, v23, v11
	v_add_f32_e32 v20, v20, v26
	v_sub_f32_e32 v10, v10, v36
	v_sub_f32_e32 v31, v19, v1
	;; [unrolled: 1-line block ×4, first 2 shown]
	v_add_f32_e32 v1, v22, v18
	v_sub_f32_e32 v36, v23, v11
	v_sub_f32_e32 v23, v16, v23
	;; [unrolled: 1-line block ×3, first 2 shown]
	v_add_f32_e32 v21, v21, v27
	v_add_f32_e32 v16, v0, v16
	;; [unrolled: 1-line block ×3, first 2 shown]
	v_sub_f32_e32 v40, v22, v18
	v_sub_f32_e32 v22, v10, v22
	;; [unrolled: 1-line block ×3, first 2 shown]
	v_add_f32_e32 v10, v1, v10
	v_add_f32_e32 v1, v13, v21
	v_mov_b32_e32 v41, v0
	v_mul_f32_e32 v12, 0x3f4a47b2, v34
	v_mul_f32_e32 v13, 0x3f4a47b2, v35
	;; [unrolled: 1-line block ×6, first 2 shown]
	s_mov_b32 s6, 0xbf5ff5aa
	v_mul_f32_e32 v36, 0xbf5ff5aa, v11
	v_fmac_f32_e32 v41, 0xbf955555, v20
	v_mov_b32_e32 v20, v1
	s_mov_b32 s7, 0x3f3bfb3b
	s_mov_b32 s12, 0xbf3bfb3b
	s_mov_b32 s13, 0x3eae86e6
	v_mul_f32_e32 v40, 0xbf5ff5aa, v18
	v_fmac_f32_e32 v20, 0xbf955555, v21
	v_fma_f32 v21, v30, s7, -v26
	v_fma_f32 v26, v31, s7, -v27
	;; [unrolled: 1-line block ×3, first 2 shown]
	v_fmac_f32_e32 v12, 0x3d64c772, v17
	v_fma_f32 v17, v31, s12, -v13
	v_fmac_f32_e32 v13, 0x3d64c772, v19
	v_fma_f32 v19, v11, s6, -v34
	;; [unrolled: 2-line block ×3, first 2 shown]
	v_fma_f32 v23, v23, s13, -v36
	v_fmac_f32_e32 v35, 0xbeae86e6, v22
	v_fma_f32 v22, v22, s13, -v40
	v_add_f32_e32 v31, v13, v20
	v_add_f32_e32 v21, v21, v41
	;; [unrolled: 1-line block ×4, first 2 shown]
	v_fmac_f32_e32 v34, 0xbee1c552, v16
	v_fmac_f32_e32 v19, 0xbee1c552, v16
	;; [unrolled: 1-line block ×4, first 2 shown]
	v_add_f32_e32 v30, v12, v41
	v_add_f32_e32 v27, v27, v41
	v_fmac_f32_e32 v35, 0xbee1c552, v10
	v_fmac_f32_e32 v22, 0xbee1c552, v10
	v_sub_f32_e32 v11, v31, v34
	v_sub_f32_e32 v13, v36, v23
	;; [unrolled: 1-line block ×3, first 2 shown]
	v_add_f32_e32 v17, v19, v26
	v_add_f32_e32 v18, v18, v21
	v_sub_f32_e32 v19, v26, v19
	v_add_f32_e32 v21, v23, v36
	v_add_f32_e32 v23, v34, v31
	;; [unrolled: 1-line block ×6, first 2 shown]
	v_sub_f32_e32 v20, v27, v22
	v_sub_f32_e32 v22, v30, v35
	v_add_f32_e32 v27, v32, v38
	v_sub_f32_e32 v30, v32, v38
	v_add_f32_e32 v32, v46, v24
	v_add_f32_e32 v34, v47, v29
	v_add_f32_e32 v36, v31, v26
	v_sub_f32_e32 v25, v37, v25
	v_add_f32_e32 v35, v28, v42
	v_add_f32_e32 v37, v32, v27
	v_sub_f32_e32 v38, v31, v26
	v_sub_f32_e32 v26, v26, v34
	;; [unrolled: 1-line block ×3, first 2 shown]
	v_add_f32_e32 v34, v34, v36
	v_sub_f32_e32 v33, v33, v43
	v_sub_f32_e32 v24, v46, v24
	;; [unrolled: 1-line block ×7, first 2 shown]
	v_add_f32_e32 v35, v35, v37
	v_add_f32_e32 v14, v14, v34
	;; [unrolled: 1-line block ×4, first 2 shown]
	v_sub_f32_e32 v43, v29, v33
	v_sub_f32_e32 v44, v28, v24
	;; [unrolled: 1-line block ×3, first 2 shown]
	v_add_f32_e32 v15, v15, v35
	v_mov_b32_e32 v45, v14
	v_sub_f32_e32 v29, v25, v29
	v_sub_f32_e32 v28, v30, v28
	;; [unrolled: 1-line block ×3, first 2 shown]
	v_add_f32_e32 v25, v41, v25
	v_add_f32_e32 v30, v42, v30
	v_mul_f32_e32 v26, 0x3f4a47b2, v26
	v_mul_f32_e32 v27, 0x3f4a47b2, v27
	;; [unrolled: 1-line block ×7, first 2 shown]
	v_fmac_f32_e32 v45, 0xbf955555, v34
	v_mov_b32_e32 v34, v15
	v_fmac_f32_e32 v34, 0xbf955555, v35
	v_fma_f32 v35, v38, s7, -v36
	v_fma_f32 v36, v40, s7, -v37
	v_fma_f32 v37, v38, s12, -v26
	v_fmac_f32_e32 v26, 0x3d64c772, v31
	v_fma_f32 v31, v40, s12, -v27
	v_fmac_f32_e32 v27, 0x3d64c772, v32
	v_fma_f32 v32, v33, s6, -v41
	v_fma_f32 v40, v28, s13, -v44
	v_mul_f32_e32 v43, 0xbf5ff5aa, v33
	v_fmac_f32_e32 v41, 0xbeae86e6, v29
	v_fma_f32 v33, v24, s6, -v42
	v_add_f32_e32 v36, v36, v34
	v_add_f32_e32 v37, v37, v45
	v_fmac_f32_e32 v32, 0xbee1c552, v25
	v_fmac_f32_e32 v40, 0xbee1c552, v30
	;; [unrolled: 1-line block ×3, first 2 shown]
	v_fma_f32 v38, v29, s13, -v43
	v_add_f32_e32 v43, v26, v45
	v_add_f32_e32 v44, v27, v34
	;; [unrolled: 1-line block ×4, first 2 shown]
	v_fmac_f32_e32 v41, 0xbee1c552, v25
	v_fmac_f32_e32 v33, 0xbee1c552, v30
	v_add_f32_e32 v26, v40, v37
	v_add_f32_e32 v29, v32, v36
	v_sub_f32_e32 v31, v36, v32
	v_sub_f32_e32 v32, v37, v40
	v_add_f32_e32 v36, v39, v58
	v_add_f32_e32 v40, v50, v56
	v_fmac_f32_e32 v42, 0xbee1c552, v30
	v_fmac_f32_e32 v38, 0xbee1c552, v25
	v_sub_f32_e32 v25, v44, v41
	v_sub_f32_e32 v28, v35, v33
	v_add_f32_e32 v30, v33, v35
	v_add_f32_e32 v35, v41, v44
	;; [unrolled: 1-line block ×7, first 2 shown]
	v_sub_f32_e32 v27, v34, v38
	v_add_f32_e32 v33, v38, v34
	v_sub_f32_e32 v34, v43, v42
	v_sub_f32_e32 v38, v39, v58
	;; [unrolled: 1-line block ×4, first 2 shown]
	v_add_f32_e32 v45, v53, v55
	v_add_f32_e32 v49, v41, v37
	v_sub_f32_e32 v50, v40, v36
	v_sub_f32_e32 v36, v36, v44
	;; [unrolled: 1-line block ×3, first 2 shown]
	v_add_f32_e32 v44, v44, v48
	v_sub_f32_e32 v43, v51, v57
	v_sub_f32_e32 v46, v54, v52
	;; [unrolled: 1-line block ×6, first 2 shown]
	v_add_f32_e32 v45, v45, v49
	v_add_f32_e32 v8, v8, v44
	;; [unrolled: 1-line block ×4, first 2 shown]
	v_sub_f32_e32 v54, v46, v42
	v_sub_f32_e32 v55, v47, v43
	;; [unrolled: 1-line block ×4, first 2 shown]
	v_add_f32_e32 v9, v9, v45
	v_mov_b32_e32 v56, v8
	v_sub_f32_e32 v46, v38, v46
	v_sub_f32_e32 v47, v39, v47
	v_add_f32_e32 v38, v52, v38
	v_add_f32_e32 v39, v53, v39
	v_mul_f32_e32 v36, 0x3f4a47b2, v36
	v_mul_f32_e32 v37, 0x3f4a47b2, v37
	v_mul_f32_e32 v48, 0x3d64c772, v40
	v_mul_f32_e32 v49, 0x3d64c772, v41
	v_mul_f32_e32 v52, 0x3f08b237, v54
	v_mul_f32_e32 v53, 0x3f08b237, v55
	v_mul_f32_e32 v54, 0xbf5ff5aa, v42
	v_mul_f32_e32 v55, 0xbf5ff5aa, v43
	v_fmac_f32_e32 v56, 0xbf955555, v44
	v_mov_b32_e32 v44, v9
	v_fmac_f32_e32 v44, 0xbf955555, v45
	v_fma_f32 v45, v50, s7, -v48
	v_fma_f32 v48, v51, s7, -v49
	;; [unrolled: 1-line block ×3, first 2 shown]
	v_fmac_f32_e32 v36, 0x3d64c772, v40
	v_fma_f32 v40, v51, s12, -v37
	v_fmac_f32_e32 v37, 0x3d64c772, v41
	v_fma_f32 v50, v42, s6, -v52
	;; [unrolled: 2-line block ×4, first 2 shown]
	v_fma_f32 v47, v47, s13, -v55
	v_add_f32_e32 v51, v36, v56
	v_add_f32_e32 v54, v37, v44
	;; [unrolled: 1-line block ×6, first 2 shown]
	v_fmac_f32_e32 v52, 0xbee1c552, v38
	v_fmac_f32_e32 v53, 0xbee1c552, v39
	;; [unrolled: 1-line block ×6, first 2 shown]
	v_add_f32_e32 v36, v53, v51
	v_sub_f32_e32 v37, v54, v52
	v_add_f32_e32 v38, v47, v48
	v_sub_f32_e32 v39, v49, v46
	v_sub_f32_e32 v40, v43, v42
	v_add_f32_e32 v41, v50, v45
	v_add_f32_e32 v42, v42, v43
	v_sub_f32_e32 v43, v45, v50
	v_sub_f32_e32 v44, v48, v47
	v_add_f32_e32 v45, v46, v49
	v_sub_f32_e32 v46, v51, v53
	v_add_f32_e32 v47, v52, v54
	ds_write_b64 v253, v[10:11] offset:1728
	ds_write_b64 v253, v[12:13] offset:3456
	;; [unrolled: 1-line block ×6, first 2 shown]
	ds_write2_b64 v253, v[0:1], v[14:15] offset1:63
	ds_write_b64 v253, v[26:27] offset:3960
	ds_write_b64 v253, v[28:29] offset:5688
	ds_write_b64 v253, v[30:31] offset:7416
	ds_write_b64 v253, v[32:33] offset:9144
	ds_write_b64 v253, v[34:35] offset:10872
	ds_write_b64 v253, v[8:9] offset:1008
	ds_write2_b64 v154, v[24:25], v[36:37] offset0:23 offset1:86
	ds_write_b64 v253, v[38:39] offset:4464
	ds_write_b64 v253, v[40:41] offset:6192
	;; [unrolled: 1-line block ×5, first 2 shown]
	s_and_saveexec_b64 s[4:5], s[0:1]
	s_cbranch_execz .LBB0_9
; %bb.8:
	v_mul_f32_e32 v0, v105, v7
	v_mul_f32_e32 v8, v99, v153
	;; [unrolled: 1-line block ×6, first 2 shown]
	v_fmac_f32_e32 v0, v104, v6
	v_fmac_f32_e32 v8, v98, v152
	;; [unrolled: 1-line block ×6, first 2 shown]
	v_sub_f32_e32 v9, v0, v8
	v_sub_f32_e32 v1, v10, v11
	v_sub_f32_e32 v15, v13, v14
	v_sub_f32_e32 v12, v9, v1
	v_sub_f32_e32 v16, v1, v15
	v_add_f32_e32 v1, v1, v15
	v_add_f32_e32 v18, v1, v9
	v_mul_f32_e32 v1, v99, v152
	v_fma_f32 v19, v98, v153, -v1
	v_mul_f32_e32 v1, v105, v6
	v_fma_f32 v6, v104, v7, -v1
	v_mul_f32_e32 v1, v101, v146
	v_fma_f32 v20, v100, v147, -v1
	v_mul_f32_e32 v1, v103, v148
	v_fma_f32 v21, v102, v149, -v1
	v_add_f32_e32 v7, v19, v6
	v_add_f32_e32 v1, v20, v21
	v_mul_f32_e32 v23, v97, v150
	v_mul_f32_e32 v2, v107, v2
	v_sub_f32_e32 v22, v7, v1
	v_fma_f32 v23, v96, v151, -v23
	v_fma_f32 v2, v106, v3, -v2
	v_mul_f32_e32 v22, 0x3f4a47b2, v22
	v_add_f32_e32 v24, v23, v2
	v_sub_f32_e32 v3, v1, v24
	v_mov_b32_e32 v26, v22
	v_mul_f32_e32 v25, 0x3d64c772, v3
	v_fmac_f32_e32 v26, 0x3d64c772, v3
	v_add_f32_e32 v3, v24, v7
	v_add_f32_e32 v3, v1, v3
	;; [unrolled: 1-line block ×5, first 2 shown]
	v_sub_f32_e32 v5, v8, v0
	v_mul_f32_e32 v10, 0x3f4a47b2, v5
	v_add_f32_e32 v11, v14, v13
	v_sub_f32_e32 v5, v0, v11
	v_mov_b32_e32 v14, v10
	v_mul_f32_e32 v13, 0x3d64c772, v5
	v_fmac_f32_e32 v14, 0x3d64c772, v5
	v_add_f32_e32 v5, v11, v8
	v_add_f32_e32 v5, v0, v5
	;; [unrolled: 1-line block ×3, first 2 shown]
	v_mov_b32_e32 v28, v0
	v_fmac_f32_e32 v28, 0xbf955555, v5
	v_sub_f32_e32 v4, v6, v19
	v_sub_f32_e32 v5, v21, v20
	;; [unrolled: 1-line block ×4, first 2 shown]
	v_mul_f32_e32 v20, 0x3f08b237, v2
	v_add_f32_e32 v2, v5, v19
	v_sub_f32_e32 v8, v11, v8
	v_sub_f32_e32 v11, v19, v4
	v_mul_f32_e32 v16, 0x3f08b237, v16
	v_mov_b32_e32 v27, v1
	v_sub_f32_e32 v6, v4, v5
	v_mov_b32_e32 v21, v20
	v_add_f32_e32 v23, v2, v4
	v_sub_f32_e32 v9, v15, v9
	v_sub_f32_e32 v7, v24, v7
	v_mul_f32_e32 v4, 0xbf5ff5aa, v11
	v_mov_b32_e32 v17, v16
	v_fmac_f32_e32 v27, 0xbf955555, v3
	v_fmac_f32_e32 v21, 0xbeae86e6, v6
	v_mul_f32_e32 v5, 0xbf5ff5aa, v9
	v_fma_f32 v19, v6, s13, -v4
	v_fma_f32 v6, v7, s7, -v25
	v_fmac_f32_e32 v17, 0xbeae86e6, v12
	v_fma_f32 v12, v12, s13, -v5
	v_fma_f32 v5, v7, s12, -v22
	v_add_f32_e32 v22, v6, v27
	v_fma_f32 v11, v11, s6, -v20
	v_fma_f32 v6, v8, s7, -v13
	v_fmac_f32_e32 v17, 0xbee1c552, v18
	v_add_f32_e32 v26, v26, v27
	v_add_f32_e32 v14, v14, v28
	v_fmac_f32_e32 v21, 0xbee1c552, v23
	v_fmac_f32_e32 v12, 0xbee1c552, v18
	v_add_f32_e32 v15, v5, v27
	v_fma_f32 v10, v8, s12, -v10
	v_fma_f32 v9, v9, s6, -v16
	v_fmac_f32_e32 v11, 0xbee1c552, v23
	v_add_f32_e32 v8, v6, v28
	v_sub_f32_e32 v2, v14, v21
	v_add_f32_e32 v5, v12, v15
	v_add_f32_e32 v10, v10, v28
	v_fmac_f32_e32 v19, 0xbee1c552, v23
	v_fmac_f32_e32 v9, 0xbee1c552, v18
	v_add_f32_e32 v6, v11, v8
	v_sub_f32_e32 v8, v8, v11
	v_sub_f32_e32 v11, v15, v12
	;; [unrolled: 1-line block ×3, first 2 shown]
	v_add_f32_e32 v12, v21, v14
	v_add_u32_e32 v14, 0x500, v253
	v_sub_f32_e32 v4, v10, v19
	v_sub_f32_e32 v7, v22, v9
	v_add_f32_e32 v9, v9, v22
	v_add_f32_e32 v10, v19, v10
	ds_write2_b64 v14, v[0:1], v[12:13] offset0:29 offset1:245
	v_add_u32_e32 v0, 0x1300, v253
	ds_write2_b64 v0, v[10:11], v[8:9] offset0:13 offset1:229
	v_add_u32_e32 v0, 0x2000, v253
	v_add_f32_e32 v3, v17, v26
	ds_write2_b64 v0, v[6:7], v[4:5] offset0:29 offset1:245
	ds_write_b64 v253, v[2:3] offset:11880
.LBB0_9:
	s_or_b64 exec, exec, s[4:5]
	buffer_load_dword v0, off, s[20:23], 0 offset:56 ; 4-byte Folded Reload
	buffer_load_dword v1, off, s[20:23], 0 offset:60 ; 4-byte Folded Reload
	s_waitcnt lgkmcnt(0)
	; wave barrier
	s_waitcnt lgkmcnt(0)
	v_mov_b32_e32 v14, s3
	s_mul_hi_u32 s3, s8, 0x17a0
	s_waitcnt vmcnt(1)
	v_mov_b32_e32 v7, v0
	v_mad_u64_u32 v[8:9], s[0:1], s10, v7, 0
	s_waitcnt vmcnt(0)
	ds_read2_b64 v[0:3], v253 offset1:63
	s_mov_b32 s0, 0x6b015ac0
	v_mov_b32_e32 v4, v9
	buffer_load_dword v9, off, s[20:23], 0 offset:112 ; 4-byte Folded Reload
	buffer_load_dword v10, off, s[20:23], 0 offset:116 ; 4-byte Folded Reload
	s_mov_b32 s1, 0x3f45ac05
	s_waitcnt vmcnt(0) lgkmcnt(0)
	v_mul_f32_e32 v5, v10, v1
	v_fmac_f32_e32 v5, v9, v0
	v_cvt_f64_f32_e32 v[5:6], v5
	v_mul_f32_e32 v0, v10, v0
	v_fma_f32 v0, v9, v1, -v0
	v_cvt_f64_f32_e32 v[0:1], v0
	v_mul_f64 v[5:6], v[5:6], s[0:1]
	v_mul_f64 v[0:1], v[0:1], s[0:1]
	v_mad_u64_u32 v[9:10], s[4:5], s11, v7, v[4:5]
	v_mad_u64_u32 v[10:11], s[4:5], s8, v254, 0
	v_cvt_f32_f64_e32 v13, v[0:1]
	v_cvt_f32_f64_e32 v12, v[5:6]
	v_mov_b32_e32 v0, v11
	v_mad_u64_u32 v[0:1], s[4:5], s9, v254, v[0:1]
	v_add_u32_e32 v1, 0x1400, v253
	ds_read2_b64 v[4:7], v1 offset0:116 offset1:179
	buffer_load_dword v15, off, s[20:23], 0 offset:104 ; 4-byte Folded Reload
	buffer_load_dword v16, off, s[20:23], 0 offset:108 ; 4-byte Folded Reload
	v_mov_b32_e32 v11, v0
	v_lshlrev_b64 v[0:1], 3, v[8:9]
	s_mul_hi_u32 s5, s8, 0xffffea58
	s_mul_i32 s4, s9, 0xffffea58
	s_sub_i32 s5, s5, s8
	s_add_i32 s4, s5, s4
	s_mul_i32 s5, s8, 0xffffea58
	s_waitcnt vmcnt(0) lgkmcnt(0)
	v_mul_f32_e32 v8, v16, v5
	v_fmac_f32_e32 v8, v15, v4
	v_cvt_f64_f32_e32 v[8:9], v8
	v_mul_f32_e32 v4, v16, v4
	v_fma_f32 v4, v15, v5, -v4
	v_add_co_u32_e32 v15, vcc, s2, v0
	v_addc_co_u32_e32 v14, vcc, v14, v1, vcc
	v_mul_f64 v[0:1], v[8:9], s[0:1]
	v_lshlrev_b64 v[8:9], 3, v[10:11]
	v_cvt_f64_f32_e32 v[4:5], v4
	v_add_co_u32_e32 v8, vcc, v15, v8
	v_addc_co_u32_e32 v9, vcc, v14, v9, vcc
	global_store_dwordx2 v[8:9], v[12:13], off
	buffer_load_dword v10, off, s[20:23], 0 offset:96 ; 4-byte Folded Reload
	buffer_load_dword v11, off, s[20:23], 0 offset:100 ; 4-byte Folded Reload
	v_mul_f64 v[4:5], v[4:5], s[0:1]
	v_cvt_f32_f64_e32 v0, v[0:1]
	s_mul_i32 s2, s9, 0x17a0
	s_add_i32 s2, s3, s2
	s_mul_i32 s3, s8, 0x17a0
	v_add_co_u32_e32 v8, vcc, s3, v8
	v_mov_b32_e32 v12, s4
	v_cvt_f32_f64_e32 v1, v[4:5]
	v_mov_b32_e32 v14, s2
	s_waitcnt vmcnt(0)
	v_mul_f32_e32 v4, v11, v3
	v_fmac_f32_e32 v4, v10, v2
	v_mul_f32_e32 v2, v11, v2
	v_fma_f32 v2, v10, v3, -v2
	v_mov_b32_e32 v10, s2
	v_addc_co_u32_e32 v9, vcc, v9, v10, vcc
	global_store_dwordx2 v[8:9], v[0:1], off
	buffer_load_dword v10, off, s[20:23], 0 offset:80 ; 4-byte Folded Reload
	buffer_load_dword v11, off, s[20:23], 0 offset:84 ; 4-byte Folded Reload
	v_cvt_f64_f32_e32 v[4:5], v4
	v_cvt_f64_f32_e32 v[2:3], v2
	v_add_co_u32_e32 v8, vcc, s5, v8
	v_mul_f64 v[4:5], v[4:5], s[0:1]
	v_mul_f64 v[2:3], v[2:3], s[0:1]
	v_addc_co_u32_e32 v9, vcc, v9, v12, vcc
	v_cvt_f32_f64_e32 v4, v[4:5]
	v_cvt_f32_f64_e32 v5, v[2:3]
	global_store_dwordx2 v[8:9], v[4:5], off
	v_add_co_u32_e32 v8, vcc, s3, v8
	v_addc_co_u32_e32 v9, vcc, v9, v14, vcc
	s_waitcnt vmcnt(1)
	v_mul_f32_e32 v0, v11, v7
	v_mul_f32_e32 v2, v11, v6
	v_fmac_f32_e32 v0, v10, v6
	v_fma_f32 v2, v10, v7, -v2
	v_cvt_f64_f32_e32 v[0:1], v0
	v_cvt_f64_f32_e32 v[2:3], v2
	v_mul_f64 v[6:7], v[0:1], s[0:1]
	v_mul_f64 v[10:11], v[2:3], s[0:1]
	ds_read2_b64 v[0:3], v253 offset0:126 offset1:189
	buffer_load_dword v15, off, s[20:23], 0 offset:72 ; 4-byte Folded Reload
	buffer_load_dword v16, off, s[20:23], 0 offset:76 ; 4-byte Folded Reload
	v_cvt_f32_f64_e32 v12, v[6:7]
	v_cvt_f32_f64_e32 v13, v[10:11]
	global_store_dwordx2 v[8:9], v[12:13], off
	v_add_co_u32_e32 v8, vcc, s5, v8
	s_waitcnt vmcnt(1) lgkmcnt(0)
	v_mul_f32_e32 v4, v16, v1
	v_fmac_f32_e32 v4, v15, v0
	v_cvt_f64_f32_e32 v[4:5], v4
	v_mul_f32_e32 v0, v16, v0
	v_fma_f32 v0, v15, v1, -v0
	v_cvt_f64_f32_e32 v[0:1], v0
	v_mul_f64 v[10:11], v[4:5], s[0:1]
	v_add_u32_e32 v4, 0x1800, v253
	ds_read2_b64 v[4:7], v4 offset0:114 offset1:177
	buffer_load_dword v14, off, s[20:23], 0 offset:64 ; 4-byte Folded Reload
	buffer_load_dword v15, off, s[20:23], 0 offset:68 ; 4-byte Folded Reload
	v_mul_f64 v[0:1], v[0:1], s[0:1]
	v_cvt_f32_f64_e32 v10, v[10:11]
	s_waitcnt vmcnt(0) lgkmcnt(0)
	v_mul_f32_e32 v11, v15, v5
	v_fmac_f32_e32 v11, v14, v4
	v_cvt_f64_f32_e32 v[12:13], v11
	v_cvt_f32_f64_e32 v11, v[0:1]
	v_mul_f32_e32 v4, v15, v4
	v_fma_f32 v4, v14, v5, -v4
	v_mov_b32_e32 v14, s4
	v_addc_co_u32_e32 v9, vcc, v9, v14, vcc
	global_store_dwordx2 v[8:9], v[10:11], off
	v_mul_f64 v[0:1], v[12:13], s[0:1]
	buffer_load_dword v13, off, s[20:23], 0 offset:48 ; 4-byte Folded Reload
	buffer_load_dword v14, off, s[20:23], 0 offset:52 ; 4-byte Folded Reload
	v_cvt_f64_f32_e32 v[4:5], v4
	v_mov_b32_e32 v12, s2
	v_add_co_u32_e32 v8, vcc, s3, v8
	v_mul_f64 v[4:5], v[4:5], s[0:1]
	v_addc_co_u32_e32 v9, vcc, v9, v12, vcc
	v_cvt_f32_f64_e32 v0, v[0:1]
	v_mov_b32_e32 v12, s4
	v_cvt_f32_f64_e32 v1, v[4:5]
	global_store_dwordx2 v[8:9], v[0:1], off
	v_add_co_u32_e32 v8, vcc, s5, v8
	v_addc_co_u32_e32 v9, vcc, v9, v12, vcc
	s_waitcnt vmcnt(1)
	v_mul_f32_e32 v10, v14, v3
	v_fmac_f32_e32 v10, v13, v2
	v_cvt_f64_f32_e32 v[10:11], v10
	v_mul_f32_e32 v2, v14, v2
	v_fma_f32 v2, v13, v3, -v2
	v_cvt_f64_f32_e32 v[2:3], v2
	v_mul_f64 v[4:5], v[10:11], s[0:1]
	buffer_load_dword v10, off, s[20:23], 0 offset:32 ; 4-byte Folded Reload
	buffer_load_dword v11, off, s[20:23], 0 offset:36 ; 4-byte Folded Reload
	v_mov_b32_e32 v14, s2
	v_mul_f64 v[0:1], v[2:3], s[0:1]
	v_cvt_f32_f64_e32 v4, v[4:5]
	s_waitcnt vmcnt(0)
	v_mul_f32_e32 v2, v11, v7
	v_fmac_f32_e32 v2, v10, v6
	v_cvt_f64_f32_e32 v[2:3], v2
	v_mul_f32_e32 v5, v11, v6
	v_fma_f32 v5, v10, v7, -v5
	v_cvt_f64_f32_e32 v[6:7], v5
	v_cvt_f32_f64_e32 v5, v[0:1]
	v_add_u32_e32 v0, 0x400, v253
	v_mul_f64 v[10:11], v[2:3], s[0:1]
	ds_read2_b64 v[0:3], v0 offset0:124 offset1:187
	v_mul_f64 v[6:7], v[6:7], s[0:1]
	global_store_dwordx2 v[8:9], v[4:5], off
	v_add_co_u32_e32 v8, vcc, s3, v8
	s_waitcnt lgkmcnt(0)
	v_mul_f32_e32 v4, v222, v1
	v_fmac_f32_e32 v4, v221, v0
	v_cvt_f64_f32_e32 v[4:5], v4
	v_mul_f32_e32 v0, v222, v0
	v_fma_f32 v0, v221, v1, -v0
	v_cvt_f32_f64_e32 v10, v[10:11]
	v_mul_f64 v[12:13], v[4:5], s[0:1]
	v_add_u32_e32 v4, 0x1c00, v253
	v_cvt_f32_f64_e32 v11, v[6:7]
	v_cvt_f64_f32_e32 v[0:1], v0
	ds_read2_b64 v[4:7], v4 offset0:112 offset1:175
	v_addc_co_u32_e32 v9, vcc, v9, v14, vcc
	v_mul_f64 v[0:1], v[0:1], s[0:1]
	global_store_dwordx2 v[8:9], v[10:11], off
	s_waitcnt lgkmcnt(0)
	v_mul_f32_e32 v11, v216, v5
	v_fmac_f32_e32 v11, v215, v4
	v_mul_f32_e32 v4, v216, v4
	v_fma_f32 v4, v215, v5, -v4
	v_cvt_f32_f64_e32 v10, v[12:13]
	v_cvt_f64_f32_e32 v[12:13], v11
	v_cvt_f64_f32_e32 v[4:5], v4
	v_cvt_f32_f64_e32 v11, v[0:1]
	v_mov_b32_e32 v14, s4
	v_mul_f64 v[0:1], v[12:13], s[0:1]
	v_mul_f64 v[4:5], v[4:5], s[0:1]
	v_add_co_u32_e32 v8, vcc, s5, v8
	v_addc_co_u32_e32 v9, vcc, v9, v14, vcc
	global_store_dwordx2 v[8:9], v[10:11], off
	v_mul_f32_e32 v10, v220, v3
	v_fmac_f32_e32 v10, v219, v2
	v_cvt_f64_f32_e32 v[10:11], v10
	v_mul_f32_e32 v2, v220, v2
	v_fma_f32 v2, v219, v3, -v2
	v_cvt_f32_f64_e32 v0, v[0:1]
	v_cvt_f32_f64_e32 v1, v[4:5]
	v_cvt_f64_f32_e32 v[2:3], v2
	v_mov_b32_e32 v12, s2
	v_mul_f64 v[4:5], v[10:11], s[0:1]
	v_add_co_u32_e32 v8, vcc, s3, v8
	v_addc_co_u32_e32 v9, vcc, v9, v12, vcc
	global_store_dwordx2 v[8:9], v[0:1], off
	v_mul_f64 v[0:1], v[2:3], s[0:1]
	v_mul_f32_e32 v2, v218, v7
	v_fmac_f32_e32 v2, v217, v6
	v_cvt_f64_f32_e32 v[2:3], v2
	v_cvt_f32_f64_e32 v4, v[4:5]
	v_mul_f32_e32 v5, v218, v6
	v_fma_f32 v5, v217, v7, -v5
	v_cvt_f64_f32_e32 v[6:7], v5
	v_cvt_f32_f64_e32 v5, v[0:1]
	v_add_u32_e32 v0, 0x800, v253
	v_mul_f64 v[10:11], v[2:3], s[0:1]
	ds_read2_b64 v[0:3], v0 offset0:122 offset1:185
	v_mov_b32_e32 v12, s4
	v_add_co_u32_e32 v8, vcc, s5, v8
	v_addc_co_u32_e32 v9, vcc, v9, v12, vcc
	v_mul_f64 v[6:7], v[6:7], s[0:1]
	global_store_dwordx2 v[8:9], v[4:5], off
	s_waitcnt lgkmcnt(0)
	v_mul_f32_e32 v4, v214, v1
	v_fmac_f32_e32 v4, v213, v0
	v_mul_f32_e32 v0, v214, v0
	v_fma_f32 v0, v213, v1, -v0
	v_cvt_f64_f32_e32 v[4:5], v4
	v_cvt_f64_f32_e32 v[0:1], v0
	v_cvt_f32_f64_e32 v10, v[10:11]
	v_cvt_f32_f64_e32 v11, v[6:7]
	v_mul_f64 v[12:13], v[4:5], s[0:1]
	v_add_u32_e32 v4, 0x2000, v253
	v_mul_f64 v[0:1], v[0:1], s[0:1]
	ds_read2_b64 v[4:7], v4 offset0:110 offset1:173
	v_mov_b32_e32 v14, s2
	v_add_co_u32_e32 v8, vcc, s3, v8
	v_addc_co_u32_e32 v9, vcc, v9, v14, vcc
	global_store_dwordx2 v[8:9], v[10:11], off
	s_waitcnt lgkmcnt(0)
	v_mul_f32_e32 v11, v212, v5
	v_fmac_f32_e32 v11, v211, v4
	v_cvt_f32_f64_e32 v10, v[12:13]
	v_cvt_f64_f32_e32 v[12:13], v11
	v_cvt_f32_f64_e32 v11, v[0:1]
	v_mov_b32_e32 v14, s4
	v_add_co_u32_e32 v8, vcc, s5, v8
	v_addc_co_u32_e32 v9, vcc, v9, v14, vcc
	global_store_dwordx2 v[8:9], v[10:11], off
	v_mul_f64 v[0:1], v[12:13], s[0:1]
	buffer_load_dword v13, off, s[20:23], 0 offset:144 ; 4-byte Folded Reload
	buffer_load_dword v14, off, s[20:23], 0 offset:148 ; 4-byte Folded Reload
	v_mul_f32_e32 v4, v212, v4
	v_fma_f32 v4, v211, v5, -v4
	v_cvt_f64_f32_e32 v[4:5], v4
	v_mov_b32_e32 v12, s2
	v_add_co_u32_e32 v8, vcc, s3, v8
	v_mul_f64 v[4:5], v[4:5], s[0:1]
	v_cvt_f32_f64_e32 v0, v[0:1]
	v_addc_co_u32_e32 v9, vcc, v9, v12, vcc
	v_mov_b32_e32 v12, s4
	v_cvt_f32_f64_e32 v1, v[4:5]
	global_store_dwordx2 v[8:9], v[0:1], off
	v_add_co_u32_e32 v8, vcc, s5, v8
	v_addc_co_u32_e32 v9, vcc, v9, v12, vcc
	s_waitcnt vmcnt(1)
	v_mul_f32_e32 v10, v14, v3
	v_fmac_f32_e32 v10, v13, v2
	v_cvt_f64_f32_e32 v[10:11], v10
	v_mul_f32_e32 v2, v14, v2
	v_fma_f32 v2, v13, v3, -v2
	v_cvt_f64_f32_e32 v[2:3], v2
	v_mul_f64 v[4:5], v[10:11], s[0:1]
	buffer_load_dword v10, off, s[20:23], 0 offset:136 ; 4-byte Folded Reload
	buffer_load_dword v11, off, s[20:23], 0 offset:140 ; 4-byte Folded Reload
	v_mov_b32_e32 v14, s2
	v_mul_f64 v[0:1], v[2:3], s[0:1]
	v_cvt_f32_f64_e32 v4, v[4:5]
	s_waitcnt vmcnt(0)
	v_mul_f32_e32 v5, v11, v6
	v_mul_f32_e32 v2, v11, v7
	v_fma_f32 v5, v10, v7, -v5
	v_fmac_f32_e32 v2, v10, v6
	v_cvt_f64_f32_e32 v[6:7], v5
	v_cvt_f32_f64_e32 v5, v[0:1]
	v_cvt_f64_f32_e32 v[2:3], v2
	v_add_u32_e32 v0, 0xc00, v253
	v_mul_f64 v[6:7], v[6:7], s[0:1]
	global_store_dwordx2 v[8:9], v[4:5], off
	v_mul_f64 v[10:11], v[2:3], s[0:1]
	ds_read2_b64 v[0:3], v0 offset0:120 offset1:183
	buffer_load_dword v15, off, s[20:23], 0 offset:128 ; 4-byte Folded Reload
	buffer_load_dword v16, off, s[20:23], 0 offset:132 ; 4-byte Folded Reload
	v_add_co_u32_e32 v8, vcc, s3, v8
	v_addc_co_u32_e32 v9, vcc, v9, v14, vcc
	v_cvt_f32_f64_e32 v10, v[10:11]
	v_cvt_f32_f64_e32 v11, v[6:7]
	global_store_dwordx2 v[8:9], v[10:11], off
	v_add_co_u32_e32 v8, vcc, s5, v8
	s_waitcnt vmcnt(1) lgkmcnt(0)
	v_mul_f32_e32 v4, v16, v1
	v_fmac_f32_e32 v4, v15, v0
	v_cvt_f64_f32_e32 v[4:5], v4
	v_mul_f32_e32 v0, v16, v0
	v_fma_f32 v0, v15, v1, -v0
	v_cvt_f64_f32_e32 v[0:1], v0
	v_mul_f64 v[12:13], v[4:5], s[0:1]
	v_add_u32_e32 v4, 0x2400, v253
	ds_read2_b64 v[4:7], v4 offset0:108 offset1:171
	buffer_load_dword v14, off, s[20:23], 0 offset:120 ; 4-byte Folded Reload
	buffer_load_dword v15, off, s[20:23], 0 offset:124 ; 4-byte Folded Reload
	v_mul_f64 v[0:1], v[0:1], s[0:1]
	v_cvt_f32_f64_e32 v10, v[12:13]
	s_waitcnt vmcnt(0) lgkmcnt(0)
	v_mul_f32_e32 v11, v15, v5
	v_fmac_f32_e32 v11, v14, v4
	v_cvt_f64_f32_e32 v[12:13], v11
	v_cvt_f32_f64_e32 v11, v[0:1]
	v_mul_f32_e32 v4, v15, v4
	v_fma_f32 v4, v14, v5, -v4
	v_mov_b32_e32 v14, s4
	v_addc_co_u32_e32 v9, vcc, v9, v14, vcc
	global_store_dwordx2 v[8:9], v[10:11], off
	v_mul_f64 v[0:1], v[12:13], s[0:1]
	buffer_load_dword v13, off, s[20:23], 0 offset:16 ; 4-byte Folded Reload
	buffer_load_dword v14, off, s[20:23], 0 offset:20 ; 4-byte Folded Reload
	v_cvt_f64_f32_e32 v[4:5], v4
	v_mov_b32_e32 v12, s2
	v_add_co_u32_e32 v8, vcc, s3, v8
	v_mul_f64 v[4:5], v[4:5], s[0:1]
	v_addc_co_u32_e32 v9, vcc, v9, v12, vcc
	v_cvt_f32_f64_e32 v0, v[0:1]
	v_cvt_f32_f64_e32 v1, v[4:5]
	global_store_dwordx2 v[8:9], v[0:1], off
	v_add_co_u32_e32 v8, vcc, s5, v8
	s_waitcnt vmcnt(1)
	v_mul_f32_e32 v10, v14, v3
	v_fmac_f32_e32 v10, v13, v2
	v_cvt_f64_f32_e32 v[10:11], v10
	v_mul_f32_e32 v2, v14, v2
	v_fma_f32 v2, v13, v3, -v2
	v_cvt_f64_f32_e32 v[2:3], v2
	v_mul_f64 v[4:5], v[10:11], s[0:1]
	buffer_load_dword v10, off, s[20:23], 0 offset:88 ; 4-byte Folded Reload
	buffer_load_dword v11, off, s[20:23], 0 offset:92 ; 4-byte Folded Reload
	v_mov_b32_e32 v14, s2
	v_mul_f64 v[0:1], v[2:3], s[0:1]
	v_cvt_f32_f64_e32 v4, v[4:5]
	s_waitcnt vmcnt(0)
	v_mul_f32_e32 v2, v11, v7
	v_mul_f32_e32 v5, v11, v6
	v_fmac_f32_e32 v2, v10, v6
	v_fma_f32 v5, v10, v7, -v5
	v_cvt_f64_f32_e32 v[2:3], v2
	v_cvt_f64_f32_e32 v[6:7], v5
	v_cvt_f32_f64_e32 v5, v[0:1]
	v_mov_b32_e32 v0, s4
	v_mul_f64 v[10:11], v[2:3], s[0:1]
	v_mul_f64 v[6:7], v[6:7], s[0:1]
	v_addc_co_u32_e32 v9, vcc, v9, v0, vcc
	v_add_u32_e32 v0, 0x1000, v253
	global_store_dwordx2 v[8:9], v[4:5], off
	ds_read2_b64 v[0:3], v0 offset0:118 offset1:181
	v_add_co_u32_e32 v8, vcc, s3, v8
	v_cvt_f32_f64_e32 v10, v[10:11]
	v_cvt_f32_f64_e32 v11, v[6:7]
	buffer_load_dword v5, off, s[20:23], 0 offset:8 ; 4-byte Folded Reload
	buffer_load_dword v6, off, s[20:23], 0 offset:12 ; 4-byte Folded Reload
	v_addc_co_u32_e32 v9, vcc, v9, v14, vcc
	global_store_dwordx2 v[8:9], v[10:11], off
	v_add_co_u32_e32 v8, vcc, s5, v8
	s_waitcnt vmcnt(1) lgkmcnt(0)
	v_mul_f32_e32 v4, v6, v1
	v_fmac_f32_e32 v4, v5, v0
	v_cvt_f64_f32_e32 v[12:13], v4
	v_mul_f32_e32 v0, v6, v0
	v_add_u32_e32 v4, 0x2800, v253
	v_fma_f32 v0, v5, v1, -v0
	ds_read2_b64 v[4:7], v4 offset0:106 offset1:169
	buffer_load_dword v14, off, s[20:23], 0 offset:40 ; 4-byte Folded Reload
	buffer_load_dword v15, off, s[20:23], 0 offset:44 ; 4-byte Folded Reload
	v_cvt_f64_f32_e32 v[0:1], v0
	v_mul_f64 v[10:11], v[12:13], s[0:1]
	v_mul_f64 v[0:1], v[0:1], s[0:1]
	v_cvt_f32_f64_e32 v10, v[10:11]
	v_cvt_f32_f64_e32 v11, v[0:1]
	s_waitcnt vmcnt(0) lgkmcnt(0)
	v_mul_f32_e32 v12, v15, v5
	v_fmac_f32_e32 v12, v14, v4
	v_cvt_f64_f32_e32 v[12:13], v12
	v_mul_f32_e32 v4, v15, v4
	v_fma_f32 v4, v14, v5, -v4
	v_cvt_f64_f32_e32 v[4:5], v4
	v_mul_f64 v[0:1], v[12:13], s[0:1]
	v_mov_b32_e32 v12, s4
	v_addc_co_u32_e32 v9, vcc, v9, v12, vcc
	global_store_dwordx2 v[8:9], v[10:11], off
	buffer_load_dword v11, off, s[20:23], 0 ; 4-byte Folded Reload
	s_nop 0
	buffer_load_dword v12, off, s[20:23], 0 offset:4 ; 4-byte Folded Reload
	v_mul_f64 v[4:5], v[4:5], s[0:1]
	v_mov_b32_e32 v10, s2
	v_cvt_f32_f64_e32 v0, v[0:1]
	v_add_co_u32_e32 v8, vcc, s3, v8
	v_addc_co_u32_e32 v9, vcc, v9, v10, vcc
	v_cvt_f32_f64_e32 v1, v[4:5]
	global_store_dwordx2 v[8:9], v[0:1], off
	s_waitcnt vmcnt(1)
	v_mul_f32_e32 v4, v12, v3
	v_fmac_f32_e32 v4, v11, v2
	v_mul_f32_e32 v2, v12, v2
	v_fma_f32 v2, v11, v3, -v2
	buffer_load_dword v10, off, s[20:23], 0 offset:24 ; 4-byte Folded Reload
	buffer_load_dword v11, off, s[20:23], 0 offset:28 ; 4-byte Folded Reload
	v_cvt_f64_f32_e32 v[4:5], v4
	v_cvt_f64_f32_e32 v[2:3], v2
	v_mul_f64 v[0:1], v[4:5], s[0:1]
	v_mul_f64 v[2:3], v[2:3], s[0:1]
	v_cvt_f32_f64_e32 v0, v[0:1]
	v_cvt_f32_f64_e32 v1, v[2:3]
	s_waitcnt vmcnt(0)
	v_mul_f32_e32 v4, v11, v7
	v_fmac_f32_e32 v4, v10, v6
	v_mul_f32_e32 v6, v11, v6
	v_fma_f32 v6, v10, v7, -v6
	v_cvt_f64_f32_e32 v[4:5], v4
	v_cvt_f64_f32_e32 v[6:7], v6
	v_mul_f64 v[2:3], v[4:5], s[0:1]
	v_mul_f64 v[4:5], v[6:7], s[0:1]
	v_mov_b32_e32 v7, s4
	v_add_co_u32_e32 v6, vcc, s5, v8
	v_addc_co_u32_e32 v7, vcc, v9, v7, vcc
	global_store_dwordx2 v[6:7], v[0:1], off
	v_cvt_f32_f64_e32 v0, v[2:3]
	v_cvt_f32_f64_e32 v1, v[4:5]
	v_mov_b32_e32 v3, s2
	v_add_co_u32_e32 v2, vcc, s3, v6
	v_addc_co_u32_e32 v3, vcc, v7, v3, vcc
	global_store_dwordx2 v[2:3], v[0:1], off
.LBB0_10:
	s_endpgm
	.section	.rodata,"a",@progbits
	.p2align	6, 0x0
	.amdhsa_kernel bluestein_single_back_len1512_dim1_sp_op_CI_CI
		.amdhsa_group_segment_fixed_size 12096
		.amdhsa_private_segment_fixed_size 420
		.amdhsa_kernarg_size 104
		.amdhsa_user_sgpr_count 6
		.amdhsa_user_sgpr_private_segment_buffer 1
		.amdhsa_user_sgpr_dispatch_ptr 0
		.amdhsa_user_sgpr_queue_ptr 0
		.amdhsa_user_sgpr_kernarg_segment_ptr 1
		.amdhsa_user_sgpr_dispatch_id 0
		.amdhsa_user_sgpr_flat_scratch_init 0
		.amdhsa_user_sgpr_private_segment_size 0
		.amdhsa_uses_dynamic_stack 0
		.amdhsa_system_sgpr_private_segment_wavefront_offset 1
		.amdhsa_system_sgpr_workgroup_id_x 1
		.amdhsa_system_sgpr_workgroup_id_y 0
		.amdhsa_system_sgpr_workgroup_id_z 0
		.amdhsa_system_sgpr_workgroup_info 0
		.amdhsa_system_vgpr_workitem_id 0
		.amdhsa_next_free_vgpr 256
		.amdhsa_next_free_sgpr 24
		.amdhsa_reserve_vcc 1
		.amdhsa_reserve_flat_scratch 0
		.amdhsa_float_round_mode_32 0
		.amdhsa_float_round_mode_16_64 0
		.amdhsa_float_denorm_mode_32 3
		.amdhsa_float_denorm_mode_16_64 3
		.amdhsa_dx10_clamp 1
		.amdhsa_ieee_mode 1
		.amdhsa_fp16_overflow 0
		.amdhsa_exception_fp_ieee_invalid_op 0
		.amdhsa_exception_fp_denorm_src 0
		.amdhsa_exception_fp_ieee_div_zero 0
		.amdhsa_exception_fp_ieee_overflow 0
		.amdhsa_exception_fp_ieee_underflow 0
		.amdhsa_exception_fp_ieee_inexact 0
		.amdhsa_exception_int_div_zero 0
	.end_amdhsa_kernel
	.text
.Lfunc_end0:
	.size	bluestein_single_back_len1512_dim1_sp_op_CI_CI, .Lfunc_end0-bluestein_single_back_len1512_dim1_sp_op_CI_CI
                                        ; -- End function
	.section	.AMDGPU.csdata,"",@progbits
; Kernel info:
; codeLenInByte = 26420
; NumSgprs: 28
; NumVgprs: 256
; ScratchSize: 420
; MemoryBound: 0
; FloatMode: 240
; IeeeMode: 1
; LDSByteSize: 12096 bytes/workgroup (compile time only)
; SGPRBlocks: 3
; VGPRBlocks: 63
; NumSGPRsForWavesPerEU: 28
; NumVGPRsForWavesPerEU: 256
; Occupancy: 1
; WaveLimiterHint : 1
; COMPUTE_PGM_RSRC2:SCRATCH_EN: 1
; COMPUTE_PGM_RSRC2:USER_SGPR: 6
; COMPUTE_PGM_RSRC2:TRAP_HANDLER: 0
; COMPUTE_PGM_RSRC2:TGID_X_EN: 1
; COMPUTE_PGM_RSRC2:TGID_Y_EN: 0
; COMPUTE_PGM_RSRC2:TGID_Z_EN: 0
; COMPUTE_PGM_RSRC2:TIDIG_COMP_CNT: 0
	.type	__hip_cuid_60c55e3f0e8ee495,@object ; @__hip_cuid_60c55e3f0e8ee495
	.section	.bss,"aw",@nobits
	.globl	__hip_cuid_60c55e3f0e8ee495
__hip_cuid_60c55e3f0e8ee495:
	.byte	0                               ; 0x0
	.size	__hip_cuid_60c55e3f0e8ee495, 1

	.ident	"AMD clang version 19.0.0git (https://github.com/RadeonOpenCompute/llvm-project roc-6.4.0 25133 c7fe45cf4b819c5991fe208aaa96edf142730f1d)"
	.section	".note.GNU-stack","",@progbits
	.addrsig
	.addrsig_sym __hip_cuid_60c55e3f0e8ee495
	.amdgpu_metadata
---
amdhsa.kernels:
  - .args:
      - .actual_access:  read_only
        .address_space:  global
        .offset:         0
        .size:           8
        .value_kind:     global_buffer
      - .actual_access:  read_only
        .address_space:  global
        .offset:         8
        .size:           8
        .value_kind:     global_buffer
      - .actual_access:  read_only
        .address_space:  global
        .offset:         16
        .size:           8
        .value_kind:     global_buffer
      - .actual_access:  read_only
        .address_space:  global
        .offset:         24
        .size:           8
        .value_kind:     global_buffer
      - .actual_access:  read_only
        .address_space:  global
        .offset:         32
        .size:           8
        .value_kind:     global_buffer
      - .offset:         40
        .size:           8
        .value_kind:     by_value
      - .address_space:  global
        .offset:         48
        .size:           8
        .value_kind:     global_buffer
      - .address_space:  global
        .offset:         56
        .size:           8
        .value_kind:     global_buffer
      - .address_space:  global
        .offset:         64
        .size:           8
        .value_kind:     global_buffer
      - .address_space:  global
        .offset:         72
        .size:           8
        .value_kind:     global_buffer
      - .offset:         80
        .size:           4
        .value_kind:     by_value
      - .address_space:  global
        .offset:         88
        .size:           8
        .value_kind:     global_buffer
      - .address_space:  global
        .offset:         96
        .size:           8
        .value_kind:     global_buffer
    .group_segment_fixed_size: 12096
    .kernarg_segment_align: 8
    .kernarg_segment_size: 104
    .language:       OpenCL C
    .language_version:
      - 2
      - 0
    .max_flat_workgroup_size: 63
    .name:           bluestein_single_back_len1512_dim1_sp_op_CI_CI
    .private_segment_fixed_size: 420
    .sgpr_count:     28
    .sgpr_spill_count: 0
    .symbol:         bluestein_single_back_len1512_dim1_sp_op_CI_CI.kd
    .uniform_work_group_size: 1
    .uses_dynamic_stack: false
    .vgpr_count:     256
    .vgpr_spill_count: 104
    .wavefront_size: 64
amdhsa.target:   amdgcn-amd-amdhsa--gfx906
amdhsa.version:
  - 1
  - 2
...

	.end_amdgpu_metadata
